;; amdgpu-corpus repo=ROCm/aiter kind=harvested arch=n/a opt=n/a

/root/src/amdgpu-assembly/repos/ROCm__aiter/hsa/gfx950/bf16gemm/bf16gemm_fp32bf16_tn_32x64_splitk_clean.co:	file format elf64-amdgpu

Disassembly of section .text:

0000000000002a00 <_ZN5aiter39bf16gemm_fp32bf16_tn_32x64_splitk_cleanE>:
	s_mov_b32 s53, s4                                          // 000000002A00: BEB50004
	s_and_b32 s1, s1, 0xffff                                   // 000000002A04: 8601FF01 0000FFFF
	s_load_dword s25, s[0:1], 0xe0                             // 000000002A0C: C0020640 000000E0
	s_load_dword s26, s[0:1], 0xf0                             // 000000002A14: C0020680 000000F0
	s_load_dword s27, s[0:1], 0x100                            // 000000002A1C: C00206C0 00000100
	s_load_dword s28, s[0:1], 0xa0                             // 000000002A24: C0020700 000000A0
	s_load_dword s29, s[0:1], 0xc0                             // 000000002A2C: C0020740 000000C0
	s_load_dword s30, s[0:1], 0x80                             // 000000002A34: C0020780 00000080
	s_load_dword s20, s[0:1], 0x40                             // 000000002A3C: C0020500 00000040
	s_load_dword s21, s[0:1], 0x50                             // 000000002A44: C0020540 00000050
	s_load_dwordx2 s[4:5], s[0:1], 0x20                        // 000000002A4C: C0060100 00000020
	s_load_dwordx2 s[8:9], s[0:1], 0x30                        // 000000002A54: C0060200 00000030
	s_load_dwordx2 s[12:13], s[0:1], 0x10                      // 000000002A5C: C0060300 00000010
	s_load_dwordx2 s[16:17], s[0:1], 0x0                       // 000000002A64: C0060400 00000000
	s_load_dword s52, s[0:1], 0x110                            // 000000002A6C: C0020D00 00000110
	s_load_dword s54, s[0:1], 0x120                            // 000000002A74: C0020D80 00000120
	s_load_dwordx2 s[36:37], s[0:1], 0x130                     // 000000002A7C: C0060900 00000130
	s_load_dword s61, s[0:1], 0x140                            // 000000002A84: C0020F40 00000140
	s_load_dwordx2 s[40:41], s[0:1], 0x150                     // 000000002A8C: C0060A00 00000150
	v_lshrrev_b32_e32 v1, 10, v0                               // 000000002A94: 2002008A
	v_lshrrev_b32_e32 v2, 10, v1                               // 000000002A98: 2004028A
	v_and_b32_e32 v2, 0x3ff, v2                                // 000000002A9C: 260404FF 000003FF
	v_and_b32_e32 v1, 0x3ff, v1                                // 000000002AA4: 260202FF 000003FF
	v_and_b32_e32 v0, 0x3ff, v0                                // 000000002AAC: 260000FF 000003FF
	v_lshrrev_b32_e32 v3, 6, v0                                // 000000002AB4: 20060086
	v_and_b32_e32 v0, 63, v0                                   // 000000002AB8: 260000BF
	s_mov_b32 s22, s2                                          // 000000002ABC: BE960002
	s_mov_b32 s23, s3                                          // 000000002AC0: BE970003
	v_readfirstlane_b32 s24, v3                                // 000000002AC4: 7E300503
	s_waitcnt lgkmcnt(0)                                       // 000000002AC8: BF8CC07F
	s_mov_b32 s18, -16                                         // 000000002ACC: BE9200D0
	s_mov_b32 s14, -16                                         // 000000002AD0: BE8E00D0
	s_mov_b32 s10, -16                                         // 000000002AD4: BE8A00D0
	s_mov_b32 s6, -16                                          // 000000002AD8: BE8600D0
	s_mov_b32 s38, -16                                         // 000000002ADC: BEA600D0
	s_mov_b32 s19, 0x20000                                     // 000000002AE0: BE9300FF 00020000
	s_mov_b32 s15, 0x20000                                     // 000000002AE8: BE8F00FF 00020000
	s_mov_b32 s11, 0x20000                                     // 000000002AF0: BE8B00FF 00020000
	s_mov_b32 s7, 0x20000                                      // 000000002AF8: BE8700FF 00020000
	s_mov_b32 s39, 0x20000                                     // 000000002B00: BEA700FF 00020000
	s_and_b32 s17, s17, 0xffff                                 // 000000002B08: 8611FF11 0000FFFF
	s_and_b32 s13, s13, 0xffff                                 // 000000002B10: 860DFF0D 0000FFFF
	s_and_b32 s9, s9, 0xffff                                   // 000000002B18: 8609FF09 0000FFFF
	s_and_b32 s5, s5, 0xffff                                   // 000000002B20: 8605FF05 0000FFFF
	s_and_b32 s37, s37, 0xffff                                 // 000000002B28: 8625FF25 0000FFFF
	s_or_b32 s17, s17, 0x40000                                 // 000000002B30: 8711FF11 00040000
	s_or_b32 s13, s13, 0x40000                                 // 000000002B38: 870DFF0D 00040000
	s_or_b32 s9, s9, 0x40000                                   // 000000002B40: 8709FF09 00040000
	s_or_b32 s5, s5, 0x40000                                   // 000000002B48: 8705FF05 00040000
	s_or_b32 s37, s37, 0x40000                                 // 000000002B50: 8725FF25 00040000
	s_add_u32 s31, s26, 63                                     // 000000002B58: 801FBF1A
	s_lshr_b32 s31, s31, 6                                     // 000000002B5C: 8F1F861F
	s_mul_i32 s62, s23, s31                                    // 000000002B60: 923E1F17
	s_add_u32 s62, s62, s22                                    // 000000002B64: 803E163E
	s_lshl_b32 s62, s62, 2                                     // 000000002B68: 8E3E823E
	s_cmp_eq_u32 s53, 0                                        // 000000002B6C: BF068035
	s_cbranch_scc0 label_005F                                  // 000000002B70: BF840002
	s_load_dword s63, s[40:41], s62 glc                        // 000000002B74: C0010FD4 0000003E

0000000000002b7c <label_005F>:
	s_mov_b32 s35, 0x7060302                                   // 000000002B7C: BEA300FF 07060302
	v_mov_b32_e32 v9, 0xffff0000                               // 000000002B84: 7E1202FF FFFF0000
	v_mov_b32_e32 v10, 0x7fff0000                              // 000000002B8C: 7E1402FF 7FFF0000
	v_mov_b32_e32 v11, 0x7fff                                  // 000000002B94: 7E1602FF 00007FFF
	s_mul_i32 s31, s30, s25                                    // 000000002B9C: 921F191E
	s_mov_b32 s18, s31                                         // 000000002BA0: BE92001F
	s_cmp_lt_u32 s54, 1                                        // 000000002BA4: BF0A8136
	s_cbranch_scc0 label_0085                                  // 000000002BA8: BF84001A
	v_and_b32_e64 v12, v0, 15                                  // 000000002BAC: D113000C 00011F00
	v_mul_lo_u32 v12, v12, s30                                 // 000000002BB4: D285000C 00003D0C
	v_lshrrev_b32_e32 v4, 4, v0                                // 000000002BBC: 20080084
	v_mul_i32_i24_e32 v4, 16, v4                               // 000000002BC0: 0C080890
	v_add_u32_e32 v12, v4, v12                                 // 000000002BC4: 68181904
	s_mul_i32 s31, s23, 32                                     // 000000002BC8: 921FA017
	s_mul_i32 s31, s31, s30                                    // 000000002BCC: 921F1E1F
	v_add_u32_e32 v12, s31, v12                                // 000000002BD0: 6818181F
	s_mul_i32 s31, s22, 64                                     // 000000002BD4: 921FC016
	s_mul_i32 s31, s31, 4                                      // 000000002BD8: 921F841F
	v_add_u32_e32 v12, s31, v12                                // 000000002BDC: 6818181F
	s_mul_i32 s31, 64, s24                                     // 000000002BE0: 921F18C0
	v_add_u32_e32 v12, s31, v12                                // 000000002BE4: 6818181F
	s_mul_i32 s31, 16, s30                                     // 000000002BE8: 921F1E90
	v_add_u32_e32 v13, s31, v12                                // 000000002BEC: 681A181F
	s_mul_i32 s31, s23, 32                                     // 000000002BF0: 921FA017
	s_add_i32 s31, s31, s24                                    // 000000002BF4: 811F181F
	s_mul_i32 s31, s31, s30                                    // 000000002BF8: 921F1E1F
	s_mul_i32 s32, s22, 64                                     // 000000002BFC: 9220C016
	s_mul_i32 s32, s32, 4                                      // 000000002C00: 92208420
	s_add_i32 s31, s31, s32                                    // 000000002C04: 811F201F
	v_lshlrev_b32_e32 v14, 2, v0                               // 000000002C08: 241C0082
	v_add_u32_e32 v14, s31, v14                                // 000000002C0C: 681C1C1F
	s_branch label_00A4                                        // 000000002C10: BF82001F

0000000000002c14 <label_0085>:
	v_and_b32_e64 v12, v0, 15                                  // 000000002C14: D113000C 00011F00
	v_mul_lo_u32 v12, v12, s30                                 // 000000002C1C: D285000C 00003D0C
	v_lshrrev_b32_e32 v4, 4, v0                                // 000000002C24: 20080084
	v_mul_i32_i24_e32 v4, 8, v4                                // 000000002C28: 0C080888
	v_add_u32_e32 v12, v4, v12                                 // 000000002C2C: 68181904
	s_mul_i32 s31, s23, 32                                     // 000000002C30: 921FA017
	s_mul_i32 s31, s31, s30                                    // 000000002C34: 921F1E1F
	v_add_u32_e32 v12, s31, v12                                // 000000002C38: 6818181F
	s_mul_i32 s31, s22, 64                                     // 000000002C3C: 921FC016
	s_mul_i32 s31, s31, 2                                      // 000000002C40: 921F821F
	v_add_u32_e32 v12, s31, v12                                // 000000002C44: 6818181F
	s_mul_i32 s31, 32, s24                                     // 000000002C48: 921F18A0
	v_add_u32_e32 v12, s31, v12                                // 000000002C4C: 6818181F
	s_mul_i32 s31, 16, s30                                     // 000000002C50: 921F1E90
	v_add_u32_e32 v13, s31, v12                                // 000000002C54: 681A181F
	s_mul_i32 s31, s23, 32                                     // 000000002C58: 921FA017
	s_add_i32 s31, s31, s24                                    // 000000002C5C: 811F181F
	s_mul_i32 s31, s31, s30                                    // 000000002C60: 921F1E1F
	s_mul_i32 s32, s22, 64                                     // 000000002C64: 9220C016
	s_mul_i32 s32, s32, 2                                      // 000000002C68: 92208220
	s_add_i32 s31, s31, s32                                    // 000000002C6C: 811F201F
	v_lshrrev_b32_e32 v4, 5, v0                                // 000000002C70: 20080085
	s_mul_i32 s32, s30, 4                                      // 000000002C74: 9220841E
	v_mul_lo_u32 v4, v4, s32                                   // 000000002C78: D2850004 00004104
	v_and_b32_e32 v5, 31, v0                                   // 000000002C80: 260A009F
	v_lshlrev_b32_e32 v5, 2, v5                                // 000000002C84: 240A0A82
	v_add_u32_e32 v14, v4, v5                                  // 000000002C88: 681C0B04
	v_add_u32_e32 v14, s31, v14                                // 000000002C8C: 681C1C1F

0000000000002c90 <label_00A4>:
	s_cmp_eq_u32 s53, 0                                        // 000000002C90: BF068035
	s_cbranch_scc0 label_00BC                                  // 000000002C94: BF840016
	s_mov_b32 s31, 0                                           // 000000002C98: BE9F0080

0000000000002c9c <label_00A7>:
	s_waitcnt lgkmcnt(0)                                       // 000000002C9C: BF8CC07F
	s_cmp_eq_u32 s63, s31                                      // 000000002CA0: BF061F3F
	s_cbranch_scc1 label_00AD                                  // 000000002CA4: BF850003
	s_load_dword s63, s[40:41], s62 glc                        // 000000002CA8: C0010FD4 0000003E
	s_branch label_00A7                                        // 000000002CB0: BF82FFFA

0000000000002cb4 <label_00AD>:
	v_mov_b32_e32 v40, 0                                       // 000000002CB4: 7E500280
	v_mov_b32_e32 v41, 0                                       // 000000002CB8: 7E520280
	v_mov_b32_e32 v42, 0                                       // 000000002CBC: 7E540280
	v_mov_b32_e32 v43, 0                                       // 000000002CC0: 7E560280
	s_cmp_lt_u32 s54, 1                                        // 000000002CC4: BF0A8136
	s_cbranch_scc0 label_00B8                                  // 000000002CC8: BF840005
	buffer_store_dwordx4 v[40:43], v12, s[16:19], 0 offen sc0 nt sc1// 000000002CCC: E07ED000 8004280C
	buffer_store_dwordx4 v[40:43], v13, s[16:19], 0 offen sc0 nt sc1// 000000002CD4: E07ED000 8004280D
	s_branch label_00BC                                        // 000000002CDC: BF820004

0000000000002ce0 <label_00B8>:
	buffer_store_dwordx2 v[40:41], v12, s[16:19], 0 offen sc0 nt sc1// 000000002CE0: E076D000 8004280C
	buffer_store_dwordx2 v[40:41], v13, s[16:19], 0 offen sc0 nt sc1// 000000002CE8: E076D000 8004280D

0000000000002cf0 <label_00BC>:
	s_mul_i32 s31, s28, s25                                    // 000000002CF0: 921F191C
	s_mov_b32 s6, s31                                          // 000000002CF4: BE86001F
	s_mov_b32 s44, 0x80                                        // 000000002CF8: BEAC00FF 00000080
	v_lshrrev_b32_e32 v4, 5, v0                                // 000000002D00: 20080085
	v_lshlrev_b32_e32 v4, 2, v4                                // 000000002D04: 24080882
	v_mul_lo_u32 v15, v4, s28                                  // 000000002D08: D285000F 00003904
	v_and_b32_e32 v4, 31, v0                                   // 000000002D10: 2608009F
	v_lshlrev_b32_e32 v4, 2, v4                                // 000000002D14: 24080882
	v_add_u32_e32 v15, v15, v4                                 // 000000002D18: 681E090F
	s_mul_i32 s31, 8, s28                                      // 000000002D1C: 921F1C88
	v_add_u32_e64 v16, v15, s31                                // 000000002D20: D1340010 00003F0F
	v_add_u32_e64 v17, v16, s31                                // 000000002D28: D1340011 00003F10
	v_add_u32_e64 v18, v17, s31                                // 000000002D30: D1340012 00003F11
	s_mul_i32 s31, s23, 32                                     // 000000002D38: 921FA017
	s_add_u32 s31, s31, s24                                    // 000000002D3C: 801F181F
	s_mul_i32 s32, s31, s28                                    // 000000002D40: 92201C1F
	v_add_u32_e64 v15, v15, s32                                // 000000002D44: D134000F 0000410F
	v_add_u32_e64 v16, v16, s32                                // 000000002D4C: D1340010 00004110
	v_add_u32_e64 v17, v17, s32                                // 000000002D54: D1340011 00004111
	v_add_u32_e64 v18, v18, s32                                // 000000002D5C: D1340012 00004112
	v_lshrrev_b32_e32 v4, 4, v0                                // 000000002D64: 20080084
	v_lshlrev_b32_e32 v5, 2, v4                                // 000000002D68: 240A0882
	v_and_b32_e32 v4, 15, v0                                   // 000000002D6C: 2608008F
	v_lshrrev_b32_e32 v6, 2, v4                                // 000000002D70: 200C0882
	v_lshlrev_b32_e32 v6, 5, v6                                // 000000002D74: 240C0C85
	v_add_u32_e32 v5, v6, v5                                   // 000000002D78: 680A0B06
	v_and_b32_e32 v4, 3, v0                                    // 000000002D7C: 26080083
	v_mul_u32_u24_e32 v6, 0x108, v4                            // 000000002D80: 100C08FF 00000108
	v_add_u32_e32 v5, v6, v5                                   // 000000002D88: 680A0B06
	v_lshlrev_b32_e32 v19, 2, v5                               // 000000002D8C: 24260A82
	s_mul_i32 s31, s24, 0x420                                  // 000000002D90: 921FFF18 00000420
	s_add_u32 s46, 0, s31                                      // 000000002D98: 802E1F80
	s_add_u32 s47, 0x1080, s46                                 // 000000002D9C: 802F2EFF 00001080
	s_add_u32 s48, 0x1080, s47                                 // 000000002DA4: 80302FFF 00001080
	s_mul_i32 s31, s29, s26                                    // 000000002DAC: 921F1A1D
	s_mov_b32 s10, s31                                         // 000000002DB0: BE8A001F
	s_mov_b32 s45, 0x80                                        // 000000002DB4: BEAD00FF 00000080
	v_lshrrev_b32_e32 v4, 5, v0                                // 000000002DBC: 20080085
	v_lshlrev_b32_e32 v4, 2, v4                                // 000000002DC0: 24080882
	v_mul_lo_u32 v20, v4, s29                                  // 000000002DC4: D2850014 00003B04
	v_and_b32_e32 v4, 31, v0                                   // 000000002DCC: 2608009F
	v_lshlrev_b32_e32 v4, 2, v4                                // 000000002DD0: 24080882
	v_add_u32_e32 v20, v20, v4                                 // 000000002DD4: 68280914
	s_mul_i32 s31, 8, s29                                      // 000000002DD8: 921F1D88
	v_add_u32_e64 v21, v20, s31                                // 000000002DDC: D1340015 00003F14
	v_add_u32_e64 v22, v21, s31                                // 000000002DE4: D1340016 00003F15
	v_add_u32_e64 v23, v22, s31                                // 000000002DEC: D1340017 00003F16
	v_add_u32_e64 v24, v23, s31                                // 000000002DF4: D1340018 00003F17
	v_add_u32_e64 v25, v24, s31                                // 000000002DFC: D1340019 00003F18
	v_add_u32_e64 v26, v25, s31                                // 000000002E04: D134001A 00003F19
	v_add_u32_e64 v27, v26, s31                                // 000000002E0C: D134001B 00003F1A
	s_mul_i32 s31, s22, 64                                     // 000000002E14: 921FC016
	s_add_u32 s31, s31, s24                                    // 000000002E18: 801F181F
	s_mul_i32 s32, s31, s29                                    // 000000002E1C: 92201D1F
	v_add_u32_e64 v20, v20, s32                                // 000000002E20: D1340014 00004114
	v_add_u32_e64 v21, v21, s32                                // 000000002E28: D1340015 00004115
	v_add_u32_e64 v22, v22, s32                                // 000000002E30: D1340016 00004116
	v_add_u32_e64 v23, v23, s32                                // 000000002E38: D1340017 00004117
	v_add_u32_e64 v24, v24, s32                                // 000000002E40: D1340018 00004118
	v_add_u32_e64 v25, v25, s32                                // 000000002E48: D1340019 00004119
	v_add_u32_e64 v26, v26, s32                                // 000000002E50: D134001A 0000411A
	v_add_u32_e64 v27, v27, s32                                // 000000002E58: D134001B 0000411B
	s_cmp_le_u32 s52, 1                                        // 000000002E60: BF0B8134
	s_cbranch_scc1 label_015B                                  // 000000002E64: BF850041
	s_lshr_b32 s32, s27, 6                                     // 000000002E68: 8F20861B
	v_cvt_f32_u32_e32 v4, s52                                  // 000000002E6C: 7E080C34
	s_sub_i32 s31, 0, s52                                      // 000000002E70: 819F3480
	v_rcp_iflag_f32_e32 v4, v4                                 // 000000002E74: 7E084704
	s_nop 0                                                    // 000000002E78: BF800000
	v_mul_f32_e32 v4, 0x4f7ffffe, v4                           // 000000002E7C: 0A0808FF 4F7FFFFE
	v_cvt_u32_f32_e32 v4, v4                                   // 000000002E84: 7E080F04
	v_mul_lo_u32 v5, s31, v4                                   // 000000002E88: D2850005 0002081F
	v_mul_hi_u32 v5, v4, v5                                    // 000000002E90: D2860005 00020B04
	v_add_u32_e32 v4, v4, v5                                   // 000000002E98: 68080B04
	v_mul_hi_u32 v4, s32, v4                                   // 000000002E9C: D2860004 00020820
	v_mul_lo_u32 v5, v4, s52                                   // 000000002EA4: D2850005 00006904
	v_sub_u32_e32 v7, s32, v5                                  // 000000002EAC: 6A0E0A20
	v_add_u32_e32 v6, 1, v4                                    // 000000002EB0: 680C0881
	v_cmp_le_u32_e32 vcc, s52, v7                              // 000000002EB4: 7D960E34
	v_subrev_u32_e32 v5, s52, v7                               // 000000002EB8: 6C0A0E34
	s_nop 0                                                    // 000000002EBC: BF800000
	v_cndmask_b32_e32 v4, v4, v6, vcc                          // 000000002EC0: 00080D04
	v_cndmask_b32_e32 v7, v7, v5, vcc                          // 000000002EC4: 000E0B07
	v_add_u32_e32 v5, 1, v4                                    // 000000002EC8: 680A0881
	v_cmp_le_u32_e32 vcc, s52, v7                              // 000000002ECC: 7D960E34
	s_nop 1                                                    // 000000002ED0: BF800001
	v_cndmask_b32_e32 v7, v4, v5, vcc                          // 000000002ED4: 000E0B04
	s_nop 3                                                    // 000000002ED8: BF800003
	v_readfirstlane_b32 s32, v7                                // 000000002EDC: 7E400507
	s_nop 3                                                    // 000000002EE0: BF800003
	s_mul_i32 s32, s32, 64                                     // 000000002EE4: 9220C020
	s_mul_i32 s31, s53, s32                                    // 000000002EE8: 921F2035
	s_sub_i32 s56, s27, s31                                    // 000000002EEC: 81B81F1B
	s_sub_i32 s31, s52, 1                                      // 000000002EF0: 819F8134
	s_cmp_eq_i32 s53, s31                                      // 000000002EF4: BF001F35
	s_cselect_b32 s27, s56, s32                                // 000000002EF8: 851B2038
	s_mul_i32 s31, s32, 2                                      // 000000002EFC: 921F8220
	s_mul_i32 s31, s31, s53                                    // 000000002F00: 921F351F
	v_add_u32_e64 v15, v15, s31                                // 000000002F04: D134000F 00003F0F
	v_add_u32_e64 v16, v16, s31                                // 000000002F0C: D1340010 00003F10
	v_add_u32_e64 v17, v17, s31                                // 000000002F14: D1340011 00003F11
	v_add_u32_e64 v18, v18, s31                                // 000000002F1C: D1340012 00003F12
	s_mul_i32 s31, s32, 2                                      // 000000002F24: 921F8220
	s_mul_i32 s31, s31, s53                                    // 000000002F28: 921F351F
	v_add_u32_e64 v20, v20, s31                                // 000000002F2C: D1340014 00003F14
	v_add_u32_e64 v21, v21, s31                                // 000000002F34: D1340015 00003F15
	v_add_u32_e64 v22, v22, s31                                // 000000002F3C: D1340016 00003F16
	v_add_u32_e64 v23, v23, s31                                // 000000002F44: D1340017 00003F17
	v_add_u32_e64 v24, v24, s31                                // 000000002F4C: D1340018 00003F18
	v_add_u32_e64 v25, v25, s31                                // 000000002F54: D1340019 00003F19
	v_add_u32_e64 v26, v26, s31                                // 000000002F5C: D134001A 00003F1A
	v_add_u32_e64 v27, v27, s31                                // 000000002F64: D134001B 00003F1B

0000000000002f6c <label_015B>:
	v_lshrrev_b32_e32 v4, 4, v0                                // 000000002F6C: 20080084
	v_lshlrev_b32_e32 v5, 2, v4                                // 000000002F70: 240A0882
	v_and_b32_e32 v4, 15, v0                                   // 000000002F74: 2608008F
	v_lshrrev_b32_e32 v6, 2, v4                                // 000000002F78: 200C0882
	v_lshlrev_b32_e32 v6, 5, v6                                // 000000002F7C: 240C0C85
	v_add_u32_e32 v5, v6, v5                                   // 000000002F80: 680A0B06
	v_and_b32_e32 v4, 3, v0                                    // 000000002F84: 26080083
	v_mul_u32_u24_e32 v6, 0x208, v4                            // 000000002F88: 100C08FF 00000208
	v_add_u32_e32 v5, v6, v5                                   // 000000002F90: 680A0B06
	v_lshlrev_b32_e32 v28, 2, v5                               // 000000002F94: 24380A82
	s_mul_i32 s31, s24, 0x200                                  // 000000002F98: 921FFF18 00000200
	v_add_u32_e32 v28, s31, v28                                // 000000002FA0: 6838381F
	s_mul_i32 s31, s24, 0x820                                  // 000000002FA4: 921FFF18 00000820
	s_add_u32 s49, 0x3180, s31                                 // 000000002FAC: 80311FFF 00003180
	s_add_u32 s50, 0x2080, s49                                 // 000000002FB4: 803231FF 00002080
	s_add_u32 s51, 0x2080, s50                                 // 000000002FBC: 803332FF 00002080
	s_cmp_eq_u32 s61, 1                                        // 000000002FC4: BF06813D
	s_cbranch_scc0 label_019C                                  // 000000002FC8: BF840029
	s_cmp_eq_i32 s53, 0                                        // 000000002FCC: BF008035
	s_cbranch_scc0 label_019C                                  // 000000002FD0: BF840027
	s_mul_i32 s31, 2, s26                                      // 000000002FD4: 921F1A82
	s_mov_b32 s38, s31                                         // 000000002FD8: BEA6001F
	v_lshrrev_b32_e32 v4, 4, v0                                // 000000002FDC: 20080084
	v_mul_i32_i24_e32 v44, 8, v4                               // 000000002FE0: 0C580888
	s_mul_i32 s31, 32, s24                                     // 000000002FE4: 921F18A0
	v_add_u32_e32 v44, s31, v44                                // 000000002FE8: 6858581F
	s_mul_i32 s32, s22, 64                                     // 000000002FEC: 9220C016
	s_mul_i32 s32, s32, 2                                      // 000000002FF0: 92208220
	v_add_u32_e32 v44, s32, v44                                // 000000002FF4: 68585820
	v_mov_b32_e32 v46, 0                                       // 000000002FF8: 7E5C0280
	v_mov_b32_e32 v47, 0                                       // 000000002FFC: 7E5E0280
	buffer_load_dwordx2 v[46:47], v44, s[36:39], 0 offen       // 000000003000: E0541000 80092E2C
	s_waitcnt vmcnt(0)                                         // 000000003008: BF8C0F70
	v_mov_b32_e32 v4, 0xffff0000                               // 00000000300C: 7E0802FF FFFF0000
	v_and_b32_e32 v4, v46, v4                                  // 000000003014: 2608092E
	v_mov_b32_e32 v5, 0xffff                                   // 000000003018: 7E0A02FF 0000FFFF
	v_and_b32_e32 v5, v46, v5                                  // 000000003020: 260A0B2E
	v_mov_b32_e32 v49, v4                                      // 000000003024: 7E620304
	v_lshlrev_b32_e32 v48, 16, v5                              // 000000003028: 24600A90
	v_mov_b32_e32 v4, 0xffff0000                               // 00000000302C: 7E0802FF FFFF0000
	v_and_b32_e32 v4, v47, v4                                  // 000000003034: 2608092F
	v_mov_b32_e32 v5, 0xffff                                   // 000000003038: 7E0A02FF 0000FFFF
	v_and_b32_e32 v5, v47, v5                                  // 000000003040: 260A0B2F
	v_mov_b32_e32 v51, v4                                      // 000000003044: 7E660304
	v_lshlrev_b32_e32 v50, 16, v5                              // 000000003048: 24640A90
	v_mov_b32_e32 v32, v48                                     // 00000000304C: 7E400330
	v_mov_b32_e32 v33, v49                                     // 000000003050: 7E420331
	v_mov_b32_e32 v34, v50                                     // 000000003054: 7E440332
	v_mov_b32_e32 v35, v51                                     // 000000003058: 7E460333
	v_mov_b32_e32 v36, v48                                     // 00000000305C: 7E480330
	v_mov_b32_e32 v37, v49                                     // 000000003060: 7E4A0331
	v_mov_b32_e32 v38, v50                                     // 000000003064: 7E4C0332
	v_mov_b32_e32 v39, v51                                     // 000000003068: 7E4E0333
	s_branch label_01A4                                        // 00000000306C: BF820008

0000000000003070 <label_019C>:
	v_mov_b32_e32 v32, 0                                       // 000000003070: 7E400280
	v_mov_b32_e32 v33, 0                                       // 000000003074: 7E420280
	v_mov_b32_e32 v34, 0                                       // 000000003078: 7E440280
	v_mov_b32_e32 v35, 0                                       // 00000000307C: 7E460280
	v_mov_b32_e32 v36, 0                                       // 000000003080: 7E480280
	v_mov_b32_e32 v37, 0                                       // 000000003084: 7E4A0280
	v_mov_b32_e32 v38, 0                                       // 000000003088: 7E4C0280
	v_mov_b32_e32 v39, 0                                       // 00000000308C: 7E4E0280

0000000000003090 <label_01A4>:
	s_add_u32 m0, 0, s46                                       // 000000003090: 807C2E80
	buffer_load_dword v15, s[4:7], 0 offen lds                 // 000000003094: E0511000 8001000F
	s_add_u32 m0, 0x100, s46                                   // 00000000309C: 807C2EFF 00000100
	buffer_load_dword v16, s[4:7], 0 offen lds                 // 0000000030A4: E0511000 80010010
	s_add_u32 m0, 0x200, s46                                   // 0000000030AC: 807C2EFF 00000200
	buffer_load_dword v17, s[4:7], 0 offen lds                 // 0000000030B4: E0511000 80010011
	s_add_u32 m0, 0x300, s46                                   // 0000000030BC: 807C2EFF 00000300
	buffer_load_dword v18, s[4:7], 0 offen lds                 // 0000000030C4: E0511000 80010012
	s_add_u32 s4, s44, s4                                      // 0000000030CC: 8004042C
	s_addc_u32 s5, 0, s5                                       // 0000000030D0: 82050580
	s_sub_u32 s6, s6, s44                                      // 0000000030D4: 80862C06
	s_add_u32 m0, 0, s49                                       // 0000000030D8: 807C3180
	buffer_load_dword v20, s[8:11], 0 offen lds                // 0000000030DC: E0511000 80020014
	s_add_u32 m0, 0x100, s49                                   // 0000000030E4: 807C31FF 00000100
	buffer_load_dword v21, s[8:11], 0 offen lds                // 0000000030EC: E0511000 80020015
	s_add_u32 m0, 0x200, s49                                   // 0000000030F4: 807C31FF 00000200
	buffer_load_dword v22, s[8:11], 0 offen lds                // 0000000030FC: E0511000 80020016
	s_add_u32 m0, 0x300, s49                                   // 000000003104: 807C31FF 00000300
	buffer_load_dword v23, s[8:11], 0 offen lds                // 00000000310C: E0511000 80020017
	s_add_u32 m0, 0x400, s49                                   // 000000003114: 807C31FF 00000400
	buffer_load_dword v24, s[8:11], 0 offen lds                // 00000000311C: E0511000 80020018
	s_add_u32 m0, 0x500, s49                                   // 000000003124: 807C31FF 00000500
	buffer_load_dword v25, s[8:11], 0 offen lds                // 00000000312C: E0511000 80020019
	s_add_u32 m0, 0x600, s49                                   // 000000003134: 807C31FF 00000600
	buffer_load_dword v26, s[8:11], 0 offen lds                // 00000000313C: E0511000 8002001A
	s_add_u32 m0, 0x700, s49                                   // 000000003144: 807C31FF 00000700
	buffer_load_dword v27, s[8:11], 0 offen lds                // 00000000314C: E0511000 8002001B
	s_add_u32 s8, s45, s8                                      // 000000003154: 8008082D
	s_addc_u32 s9, 0, s9                                       // 000000003158: 82090980
	s_sub_u32 s10, s10, s45                                    // 00000000315C: 808A2D0A
	s_add_u32 m0, 0, s47                                       // 000000003160: 807C2F80
	buffer_load_dword v15, s[4:7], 0 offen lds                 // 000000003164: E0511000 8001000F
	s_add_u32 m0, 0x100, s47                                   // 00000000316C: 807C2FFF 00000100
	buffer_load_dword v16, s[4:7], 0 offen lds                 // 000000003174: E0511000 80010010
	s_add_u32 m0, 0x200, s47                                   // 00000000317C: 807C2FFF 00000200
	buffer_load_dword v17, s[4:7], 0 offen lds                 // 000000003184: E0511000 80010011
	s_add_u32 m0, 0x300, s47                                   // 00000000318C: 807C2FFF 00000300
	buffer_load_dword v18, s[4:7], 0 offen lds                 // 000000003194: E0511000 80010012
	s_add_u32 s4, s44, s4                                      // 00000000319C: 8004042C
	s_addc_u32 s5, 0, s5                                       // 0000000031A0: 82050580
	s_sub_u32 s6, s6, s44                                      // 0000000031A4: 80862C06
	s_add_u32 m0, 0, s50                                       // 0000000031A8: 807C3280
	buffer_load_dword v20, s[8:11], 0 offen lds                // 0000000031AC: E0511000 80020014
	s_add_u32 m0, 0x100, s50                                   // 0000000031B4: 807C32FF 00000100
	buffer_load_dword v21, s[8:11], 0 offen lds                // 0000000031BC: E0511000 80020015
	s_add_u32 m0, 0x200, s50                                   // 0000000031C4: 807C32FF 00000200
	buffer_load_dword v22, s[8:11], 0 offen lds                // 0000000031CC: E0511000 80020016
	s_add_u32 m0, 0x300, s50                                   // 0000000031D4: 807C32FF 00000300
	buffer_load_dword v23, s[8:11], 0 offen lds                // 0000000031DC: E0511000 80020017
	s_add_u32 m0, 0x400, s50                                   // 0000000031E4: 807C32FF 00000400
	buffer_load_dword v24, s[8:11], 0 offen lds                // 0000000031EC: E0511000 80020018
	s_add_u32 m0, 0x500, s50                                   // 0000000031F4: 807C32FF 00000500
	buffer_load_dword v25, s[8:11], 0 offen lds                // 0000000031FC: E0511000 80020019
	s_add_u32 m0, 0x600, s50                                   // 000000003204: 807C32FF 00000600
	buffer_load_dword v26, s[8:11], 0 offen lds                // 00000000320C: E0511000 8002001A
	s_add_u32 m0, 0x700, s50                                   // 000000003214: 807C32FF 00000700
	buffer_load_dword v27, s[8:11], 0 offen lds                // 00000000321C: E0511000 8002001B
	s_add_u32 s8, s45, s8                                      // 000000003224: 8008082D
	s_addc_u32 s9, 0, s9                                       // 000000003228: 82090980
	s_sub_u32 s10, s10, s45                                    // 00000000322C: 808A2D0A
	s_add_u32 m0, 0, s48                                       // 000000003230: 807C3080
	buffer_load_dword v15, s[4:7], 0 offen lds                 // 000000003234: E0511000 8001000F
	s_add_u32 m0, 0x100, s48                                   // 00000000323C: 807C30FF 00000100
	buffer_load_dword v16, s[4:7], 0 offen lds                 // 000000003244: E0511000 80010010
	s_add_u32 m0, 0x200, s48                                   // 00000000324C: 807C30FF 00000200
	buffer_load_dword v17, s[4:7], 0 offen lds                 // 000000003254: E0511000 80010011
	s_add_u32 m0, 0x300, s48                                   // 00000000325C: 807C30FF 00000300
	buffer_load_dword v18, s[4:7], 0 offen lds                 // 000000003264: E0511000 80010012
	s_add_u32 s4, s44, s4                                      // 00000000326C: 8004042C
	s_addc_u32 s5, 0, s5                                       // 000000003270: 82050580
	s_sub_u32 s6, s6, s44                                      // 000000003274: 80862C06
	s_add_u32 m0, 0, s51                                       // 000000003278: 807C3380
	buffer_load_dword v20, s[8:11], 0 offen lds                // 00000000327C: E0511000 80020014
	s_add_u32 m0, 0x100, s51                                   // 000000003284: 807C33FF 00000100
	buffer_load_dword v21, s[8:11], 0 offen lds                // 00000000328C: E0511000 80020015
	s_add_u32 m0, 0x200, s51                                   // 000000003294: 807C33FF 00000200
	buffer_load_dword v22, s[8:11], 0 offen lds                // 00000000329C: E0511000 80020016
	s_add_u32 m0, 0x300, s51                                   // 0000000032A4: 807C33FF 00000300
	buffer_load_dword v23, s[8:11], 0 offen lds                // 0000000032AC: E0511000 80020017
	s_add_u32 m0, 0x400, s51                                   // 0000000032B4: 807C33FF 00000400
	buffer_load_dword v24, s[8:11], 0 offen lds                // 0000000032BC: E0511000 80020018
	s_add_u32 m0, 0x500, s51                                   // 0000000032C4: 807C33FF 00000500
	buffer_load_dword v25, s[8:11], 0 offen lds                // 0000000032CC: E0511000 80020019
	s_add_u32 m0, 0x600, s51                                   // 0000000032D4: 807C33FF 00000600
	buffer_load_dword v26, s[8:11], 0 offen lds                // 0000000032DC: E0511000 8002001A
	s_add_u32 m0, 0x700, s51                                   // 0000000032E4: 807C33FF 00000700
	buffer_load_dword v27, s[8:11], 0 offen lds                // 0000000032EC: E0511000 8002001B
	s_add_u32 s8, s45, s8                                      // 0000000032F4: 8008082D
	s_addc_u32 s9, 0, s9                                       // 0000000032F8: 82090980
	s_sub_u32 s10, s10, s45                                    // 0000000032FC: 808A2D0A
	s_mov_b32 s34, s27                                         // 000000003300: BEA2001B
	s_mov_b32 s33, 0                                           // 000000003304: BEA10080
	s_mul_i32 s31, s23, 32                                     // 000000003308: 921FA017
	s_sub_i32 s55, s25, s31                                    // 00000000330C: 81B71F19
	s_waitcnt vmcnt(24)                                        // 000000003310: BF8C4F78
	s_barrier                                                  // 000000003314: BF8A0000
	s_waitcnt lgkmcnt(0)                                       // 000000003318: BF8CC07F
	s_or_b32 s31, s53, s24                                     // 00000000331C: 871F1835
	s_cmp_eq_u32 s31, 0                                        // 000000003320: BF06801F
	s_cbranch_scc0 label_024C                                  // 000000003324: BF840002
	s_store_dword s52, s[40:41], s62 glc                       // 000000003328: C0410D14 0000003E

0000000000003330 <label_024C>:
	ds_read_b128 a[0:3], v19                                   // 000000003330: DBFE0000 00000013
	ds_read_b128 a[4:7], v19 offset:64                         // 000000003338: DBFE0040 04000013
	ds_read_b128 a[8:11], v19 offset:512                       // 000000003340: DBFE0200 08000013
	ds_read_b128 a[12:15], v19 offset:576                      // 000000003348: DBFE0240 0C000013
	ds_read_b128 a[32:35], v28 offset:12672                    // 000000003350: DBFE3180 2000001C
	ds_read_b128 a[36:39], v28 offset:12736                    // 000000003358: DBFE31C0 2400001C
	s_cmp_lt_i32 s24, 2                                        // 000000003360: BF048218
	s_cbranch_scc0 label_047D                                  // 000000003364: BF840223

0000000000003368 <label_025A>:
	s_waitcnt vmcnt(12) lgkmcnt(0)                             // 000000003368: BF8C007C
	s_barrier                                                  // 00000000336C: BF8A0000
	v_mfma_f32_16x16x16_bf16 v[32:35], a[32:33], a[0:1], v[32:35]// 000000003370: D3E10020 1C820120
	s_add_u32 m0, 0, s46                                       // 000000003378: 807C2E80
	buffer_load_dword v15, s[4:7], 0 offen lds                 // 00000000337C: E0511000 8001000F
	v_mfma_f32_16x16x16_bf16 v[32:35], a[34:35], a[2:3], v[32:35]// 000000003384: D3E10020 1C820522
	s_add_u32 m0, 0x100, s46                                   // 00000000338C: 807C2EFF 00000100
	buffer_load_dword v16, s[4:7], 0 offen lds                 // 000000003394: E0511000 80010010
	ds_read_b128 a[16:19], v19 offset:4224                     // 00000000339C: DBFE1080 10000013
	ds_read_b128 a[20:23], v19 offset:4288                     // 0000000033A4: DBFE10C0 14000013
	v_mfma_f32_16x16x16_bf16 v[32:35], a[36:37], a[4:5], v[32:35]// 0000000033AC: D3E10020 1C820924
	s_add_u32 m0, 0x200, s46                                   // 0000000033B4: 807C2EFF 00000200
	buffer_load_dword v17, s[4:7], 0 offen lds                 // 0000000033BC: E0511000 80010011
	v_mfma_f32_16x16x16_bf16 v[32:35], a[38:39], a[6:7], v[32:35]// 0000000033C4: D3E10020 1C820D26
	s_add_u32 m0, 0x300, s46                                   // 0000000033CC: 807C2EFF 00000300
	buffer_load_dword v18, s[4:7], 0 offen lds                 // 0000000033D4: E0511000 80010012
	ds_read_b128 a[24:27], v19 offset:4736                     // 0000000033DC: DBFE1280 18000013
	ds_read_b128 a[28:31], v19 offset:4800                     // 0000000033E4: DBFE12C0 1C000013
	v_mfma_f32_16x16x16_bf16 v[36:39], a[32:33], a[8:9], v[36:39]// 0000000033EC: D3E10024 1C921120
	s_add_u32 s31, 0x100, s33                                  // 0000000033F4: 801F21FF 00000100
	s_cmp_lt_u32 s31, s34                                      // 0000000033FC: BF0A221F
	s_cselect_b32 s44, s44, 0                                  // 000000003400: 852C802C
	s_add_u32 m0, 0, s49                                       // 000000003404: 807C3180
	buffer_load_dword v20, s[8:11], 0 offen lds                // 000000003408: E0511000 80020014
	v_mfma_f32_16x16x16_bf16 v[36:39], a[34:35], a[10:11], v[36:39]// 000000003410: D3E10024 1C921522
	s_add_u32 m0, 0x100, s49                                   // 000000003418: 807C31FF 00000100
	buffer_load_dword v21, s[8:11], 0 offen lds                // 000000003420: E0511000 80020015
	s_add_u32 s4, s44, s4                                      // 000000003428: 8004042C
	s_addc_u32 s5, 0, s5                                       // 00000000342C: 82050580
	ds_read_b128 a[40:43], v28 offset:20992                    // 000000003430: DBFE5200 2800001C
	ds_read_b128 a[44:47], v28 offset:21056                    // 000000003438: DBFE5240 2C00001C
	v_mfma_f32_16x16x16_bf16 v[36:39], a[36:37], a[12:13], v[36:39]// 000000003440: D3E10024 1C921924
	s_add_u32 m0, 0x200, s49                                   // 000000003448: 807C31FF 00000200
	buffer_load_dword v22, s[8:11], 0 offen lds                // 000000003450: E0511000 80020016
	v_mfma_f32_16x16x16_bf16 v[36:39], a[38:39], a[14:15], v[36:39]// 000000003458: D3E10024 1C921D26
	s_add_u32 m0, 0x300, s49                                   // 000000003460: 807C31FF 00000300
	buffer_load_dword v23, s[8:11], 0 offen lds                // 000000003468: E0511000 80020017
	s_add_u32 m0, 0x400, s49                                   // 000000003470: 807C31FF 00000400
	buffer_load_dword v24, s[8:11], 0 offen lds                // 000000003478: E0511000 80020018
	;; [unrolled: 2-line block ×3, first 2 shown]
	s_add_u32 m0, 0x600, s49                                   // 000000003490: 807C31FF 00000600
	buffer_load_dword v26, s[8:11], 0 offen lds                // 000000003498: E0511000 8002001A
	s_add_u32 m0, 0x700, s49                                   // 0000000034A0: 807C31FF 00000700
	buffer_load_dword v27, s[8:11], 0 offen lds                // 0000000034A8: E0511000 8002001B
	s_add_u32 s31, 0x100, s33                                  // 0000000034B0: 801F21FF 00000100
	s_cmp_lt_u32 s31, s34                                      // 0000000034B8: BF0A221F
	s_cselect_b32 s45, s45, 0                                  // 0000000034BC: 852D802D
	s_add_u32 s8, s45, s8                                      // 0000000034C0: 8008082D
	s_addc_u32 s9, 0, s9                                       // 0000000034C4: 82090980
	s_addk_i32 s33, 0x40                                       // 0000000034C8: B7210040
	s_cmp_lt_i32 s33, s34                                      // 0000000034CC: BF042221
	s_cbranch_scc0 label_06A0                                  // 0000000034D0: BF8403EB
	s_waitcnt vmcnt(12) lgkmcnt(0)                             // 0000000034D4: BF8C007C
	s_barrier                                                  // 0000000034D8: BF8A0000
	v_mfma_f32_16x16x16_bf16 v[32:35], a[40:41], a[16:17], v[32:35]// 0000000034DC: D3E10020 1C822128
	s_add_u32 m0, 0, s47                                       // 0000000034E4: 807C2F80
	buffer_load_dword v15, s[4:7], 0 offen lds                 // 0000000034E8: E0511000 8001000F
	v_mfma_f32_16x16x16_bf16 v[32:35], a[42:43], a[18:19], v[32:35]// 0000000034F0: D3E10020 1C82252A
	s_add_u32 m0, 0x100, s47                                   // 0000000034F8: 807C2FFF 00000100
	buffer_load_dword v16, s[4:7], 0 offen lds                 // 000000003500: E0511000 80010010
	ds_read_b128 a[0:3], v19 offset:8448                       // 000000003508: DBFE2100 00000013
	ds_read_b128 a[4:7], v19 offset:8512                       // 000000003510: DBFE2140 04000013
	v_mfma_f32_16x16x16_bf16 v[32:35], a[44:45], a[20:21], v[32:35]// 000000003518: D3E10020 1C82292C
	s_add_u32 m0, 0x200, s47                                   // 000000003520: 807C2FFF 00000200
	buffer_load_dword v17, s[4:7], 0 offen lds                 // 000000003528: E0511000 80010011
	v_mfma_f32_16x16x16_bf16 v[32:35], a[46:47], a[22:23], v[32:35]// 000000003530: D3E10020 1C822D2E
	s_add_u32 m0, 0x300, s47                                   // 000000003538: 807C2FFF 00000300
	buffer_load_dword v18, s[4:7], 0 offen lds                 // 000000003540: E0511000 80010012
	ds_read_b128 a[8:11], v19 offset:8960                      // 000000003548: DBFE2300 08000013
	ds_read_b128 a[12:15], v19 offset:9024                     // 000000003550: DBFE2340 0C000013
	v_mfma_f32_16x16x16_bf16 v[36:39], a[40:41], a[24:25], v[36:39]// 000000003558: D3E10024 1C923128
	s_add_u32 s31, 0x100, s33                                  // 000000003560: 801F21FF 00000100
	s_cmp_lt_u32 s31, s34                                      // 000000003568: BF0A221F
	s_cselect_b32 s44, s44, 0                                  // 00000000356C: 852C802C
	s_add_u32 m0, 0, s50                                       // 000000003570: 807C3280
	buffer_load_dword v20, s[8:11], 0 offen lds                // 000000003574: E0511000 80020014
	v_mfma_f32_16x16x16_bf16 v[36:39], a[42:43], a[26:27], v[36:39]// 00000000357C: D3E10024 1C92352A
	s_add_u32 m0, 0x100, s50                                   // 000000003584: 807C32FF 00000100
	buffer_load_dword v21, s[8:11], 0 offen lds                // 00000000358C: E0511000 80020015
	s_add_u32 s4, s44, s4                                      // 000000003594: 8004042C
	s_addc_u32 s5, 0, s5                                       // 000000003598: 82050580
	ds_read_b128 a[32:35], v28 offset:29312                    // 00000000359C: DBFE7280 2000001C
	ds_read_b128 a[36:39], v28 offset:29376                    // 0000000035A4: DBFE72C0 2400001C
	v_mfma_f32_16x16x16_bf16 v[36:39], a[44:45], a[28:29], v[36:39]// 0000000035AC: D3E10024 1C92392C
	s_add_u32 m0, 0x200, s50                                   // 0000000035B4: 807C32FF 00000200
	buffer_load_dword v22, s[8:11], 0 offen lds                // 0000000035BC: E0511000 80020016
	v_mfma_f32_16x16x16_bf16 v[36:39], a[46:47], a[30:31], v[36:39]// 0000000035C4: D3E10024 1C923D2E
	s_add_u32 m0, 0x300, s50                                   // 0000000035CC: 807C32FF 00000300
	buffer_load_dword v23, s[8:11], 0 offen lds                // 0000000035D4: E0511000 80020017
	s_add_u32 m0, 0x400, s50                                   // 0000000035DC: 807C32FF 00000400
	buffer_load_dword v24, s[8:11], 0 offen lds                // 0000000035E4: E0511000 80020018
	s_add_u32 m0, 0x500, s50                                   // 0000000035EC: 807C32FF 00000500
	buffer_load_dword v25, s[8:11], 0 offen lds                // 0000000035F4: E0511000 80020019
	s_add_u32 m0, 0x600, s50                                   // 0000000035FC: 807C32FF 00000600
	buffer_load_dword v26, s[8:11], 0 offen lds                // 000000003604: E0511000 8002001A
	s_add_u32 m0, 0x700, s50                                   // 00000000360C: 807C32FF 00000700
	buffer_load_dword v27, s[8:11], 0 offen lds                // 000000003614: E0511000 8002001B
	s_add_u32 s31, 0x100, s33                                  // 00000000361C: 801F21FF 00000100
	s_cmp_lt_u32 s31, s34                                      // 000000003624: BF0A221F
	s_cselect_b32 s45, s45, 0                                  // 000000003628: 852D802D
	s_add_u32 s8, s45, s8                                      // 00000000362C: 8008082D
	s_addc_u32 s9, 0, s9                                       // 000000003630: 82090980
	s_addk_i32 s33, 0x40                                       // 000000003634: B7210040
	s_cmp_lt_i32 s33, s34                                      // 000000003638: BF042221
	s_cbranch_scc0 label_06A0                                  // 00000000363C: BF840390
	s_waitcnt vmcnt(12) lgkmcnt(0)                             // 000000003640: BF8C007C
	s_barrier                                                  // 000000003644: BF8A0000
	v_mfma_f32_16x16x16_bf16 v[32:35], a[32:33], a[0:1], v[32:35]// 000000003648: D3E10020 1C820120
	s_add_u32 m0, 0, s48                                       // 000000003650: 807C3080
	buffer_load_dword v15, s[4:7], 0 offen lds                 // 000000003654: E0511000 8001000F
	v_mfma_f32_16x16x16_bf16 v[32:35], a[34:35], a[2:3], v[32:35]// 00000000365C: D3E10020 1C820522
	s_add_u32 m0, 0x100, s48                                   // 000000003664: 807C30FF 00000100
	buffer_load_dword v16, s[4:7], 0 offen lds                 // 00000000366C: E0511000 80010010
	ds_read_b128 a[16:19], v19                                 // 000000003674: DBFE0000 10000013
	ds_read_b128 a[20:23], v19 offset:64                       // 00000000367C: DBFE0040 14000013
	v_mfma_f32_16x16x16_bf16 v[32:35], a[36:37], a[4:5], v[32:35]// 000000003684: D3E10020 1C820924
	s_add_u32 m0, 0x200, s48                                   // 00000000368C: 807C30FF 00000200
	buffer_load_dword v17, s[4:7], 0 offen lds                 // 000000003694: E0511000 80010011
	v_mfma_f32_16x16x16_bf16 v[32:35], a[38:39], a[6:7], v[32:35]// 00000000369C: D3E10020 1C820D26
	s_add_u32 m0, 0x300, s48                                   // 0000000036A4: 807C30FF 00000300
	buffer_load_dword v18, s[4:7], 0 offen lds                 // 0000000036AC: E0511000 80010012
	ds_read_b128 a[24:27], v19 offset:512                      // 0000000036B4: DBFE0200 18000013
	ds_read_b128 a[28:31], v19 offset:576                      // 0000000036BC: DBFE0240 1C000013
	v_mfma_f32_16x16x16_bf16 v[36:39], a[32:33], a[8:9], v[36:39]// 0000000036C4: D3E10024 1C921120
	s_add_u32 s31, 0x100, s33                                  // 0000000036CC: 801F21FF 00000100
	s_cmp_lt_u32 s31, s34                                      // 0000000036D4: BF0A221F
	s_cselect_b32 s44, s44, 0                                  // 0000000036D8: 852C802C
	s_add_u32 m0, 0, s51                                       // 0000000036DC: 807C3380
	buffer_load_dword v20, s[8:11], 0 offen lds                // 0000000036E0: E0511000 80020014
	v_mfma_f32_16x16x16_bf16 v[36:39], a[34:35], a[10:11], v[36:39]// 0000000036E8: D3E10024 1C921522
	s_add_u32 m0, 0x100, s51                                   // 0000000036F0: 807C33FF 00000100
	buffer_load_dword v21, s[8:11], 0 offen lds                // 0000000036F8: E0511000 80020015
	s_add_u32 s4, s44, s4                                      // 000000003700: 8004042C
	s_addc_u32 s5, 0, s5                                       // 000000003704: 82050580
	ds_read_b128 a[40:43], v28 offset:12672                    // 000000003708: DBFE3180 2800001C
	ds_read_b128 a[44:47], v28 offset:12736                    // 000000003710: DBFE31C0 2C00001C
	v_mfma_f32_16x16x16_bf16 v[36:39], a[36:37], a[12:13], v[36:39]// 000000003718: D3E10024 1C921924
	s_add_u32 m0, 0x200, s51                                   // 000000003720: 807C33FF 00000200
	buffer_load_dword v22, s[8:11], 0 offen lds                // 000000003728: E0511000 80020016
	v_mfma_f32_16x16x16_bf16 v[36:39], a[38:39], a[14:15], v[36:39]// 000000003730: D3E10024 1C921D26
	s_add_u32 m0, 0x300, s51                                   // 000000003738: 807C33FF 00000300
	buffer_load_dword v23, s[8:11], 0 offen lds                // 000000003740: E0511000 80020017
	s_add_u32 m0, 0x400, s51                                   // 000000003748: 807C33FF 00000400
	buffer_load_dword v24, s[8:11], 0 offen lds                // 000000003750: E0511000 80020018
	;; [unrolled: 2-line block ×3, first 2 shown]
	s_add_u32 m0, 0x600, s51                                   // 000000003768: 807C33FF 00000600
	buffer_load_dword v26, s[8:11], 0 offen lds                // 000000003770: E0511000 8002001A
	s_add_u32 m0, 0x700, s51                                   // 000000003778: 807C33FF 00000700
	buffer_load_dword v27, s[8:11], 0 offen lds                // 000000003780: E0511000 8002001B
	s_add_u32 s31, 0x100, s33                                  // 000000003788: 801F21FF 00000100
	s_cmp_lt_u32 s31, s34                                      // 000000003790: BF0A221F
	s_cselect_b32 s45, s45, 0                                  // 000000003794: 852D802D
	s_add_u32 s8, s45, s8                                      // 000000003798: 8008082D
	s_addc_u32 s9, 0, s9                                       // 00000000379C: 82090980
	s_addk_i32 s33, 0x40                                       // 0000000037A0: B7210040
	s_cmp_lt_i32 s33, s34                                      // 0000000037A4: BF042221
	s_cbranch_scc0 label_06A0                                  // 0000000037A8: BF840335
	s_waitcnt vmcnt(12) lgkmcnt(0)                             // 0000000037AC: BF8C007C
	s_barrier                                                  // 0000000037B0: BF8A0000
	v_mfma_f32_16x16x16_bf16 v[32:35], a[40:41], a[16:17], v[32:35]// 0000000037B4: D3E10020 1C822128
	s_add_u32 m0, 0, s46                                       // 0000000037BC: 807C2E80
	buffer_load_dword v15, s[4:7], 0 offen lds                 // 0000000037C0: E0511000 8001000F
	v_mfma_f32_16x16x16_bf16 v[32:35], a[42:43], a[18:19], v[32:35]// 0000000037C8: D3E10020 1C82252A
	s_add_u32 m0, 0x100, s46                                   // 0000000037D0: 807C2EFF 00000100
	buffer_load_dword v16, s[4:7], 0 offen lds                 // 0000000037D8: E0511000 80010010
	ds_read_b128 a[0:3], v19 offset:4224                       // 0000000037E0: DBFE1080 00000013
	ds_read_b128 a[4:7], v19 offset:4288                       // 0000000037E8: DBFE10C0 04000013
	v_mfma_f32_16x16x16_bf16 v[32:35], a[44:45], a[20:21], v[32:35]// 0000000037F0: D3E10020 1C82292C
	s_add_u32 m0, 0x200, s46                                   // 0000000037F8: 807C2EFF 00000200
	buffer_load_dword v17, s[4:7], 0 offen lds                 // 000000003800: E0511000 80010011
	v_mfma_f32_16x16x16_bf16 v[32:35], a[46:47], a[22:23], v[32:35]// 000000003808: D3E10020 1C822D2E
	s_add_u32 m0, 0x300, s46                                   // 000000003810: 807C2EFF 00000300
	buffer_load_dword v18, s[4:7], 0 offen lds                 // 000000003818: E0511000 80010012
	ds_read_b128 a[8:11], v19 offset:4736                      // 000000003820: DBFE1280 08000013
	ds_read_b128 a[12:15], v19 offset:4800                     // 000000003828: DBFE12C0 0C000013
	v_mfma_f32_16x16x16_bf16 v[36:39], a[40:41], a[24:25], v[36:39]// 000000003830: D3E10024 1C923128
	s_add_u32 s31, 0x100, s33                                  // 000000003838: 801F21FF 00000100
	s_cmp_lt_u32 s31, s34                                      // 000000003840: BF0A221F
	s_cselect_b32 s44, s44, 0                                  // 000000003844: 852C802C
	s_add_u32 m0, 0, s49                                       // 000000003848: 807C3180
	buffer_load_dword v20, s[8:11], 0 offen lds                // 00000000384C: E0511000 80020014
	v_mfma_f32_16x16x16_bf16 v[36:39], a[42:43], a[26:27], v[36:39]// 000000003854: D3E10024 1C92352A
	s_add_u32 m0, 0x100, s49                                   // 00000000385C: 807C31FF 00000100
	buffer_load_dword v21, s[8:11], 0 offen lds                // 000000003864: E0511000 80020015
	s_add_u32 s4, s44, s4                                      // 00000000386C: 8004042C
	s_addc_u32 s5, 0, s5                                       // 000000003870: 82050580
	ds_read_b128 a[32:35], v28 offset:20992                    // 000000003874: DBFE5200 2000001C
	ds_read_b128 a[36:39], v28 offset:21056                    // 00000000387C: DBFE5240 2400001C
	v_mfma_f32_16x16x16_bf16 v[36:39], a[44:45], a[28:29], v[36:39]// 000000003884: D3E10024 1C92392C
	s_add_u32 m0, 0x200, s49                                   // 00000000388C: 807C31FF 00000200
	buffer_load_dword v22, s[8:11], 0 offen lds                // 000000003894: E0511000 80020016
	v_mfma_f32_16x16x16_bf16 v[36:39], a[46:47], a[30:31], v[36:39]// 00000000389C: D3E10024 1C923D2E
	s_add_u32 m0, 0x300, s49                                   // 0000000038A4: 807C31FF 00000300
	buffer_load_dword v23, s[8:11], 0 offen lds                // 0000000038AC: E0511000 80020017
	s_add_u32 m0, 0x400, s49                                   // 0000000038B4: 807C31FF 00000400
	buffer_load_dword v24, s[8:11], 0 offen lds                // 0000000038BC: E0511000 80020018
	s_add_u32 m0, 0x500, s49                                   // 0000000038C4: 807C31FF 00000500
	buffer_load_dword v25, s[8:11], 0 offen lds                // 0000000038CC: E0511000 80020019
	s_add_u32 m0, 0x600, s49                                   // 0000000038D4: 807C31FF 00000600
	buffer_load_dword v26, s[8:11], 0 offen lds                // 0000000038DC: E0511000 8002001A
	s_add_u32 m0, 0x700, s49                                   // 0000000038E4: 807C31FF 00000700
	buffer_load_dword v27, s[8:11], 0 offen lds                // 0000000038EC: E0511000 8002001B
	s_add_u32 s31, 0x100, s33                                  // 0000000038F4: 801F21FF 00000100
	s_cmp_lt_u32 s31, s34                                      // 0000000038FC: BF0A221F
	s_cselect_b32 s45, s45, 0                                  // 000000003900: 852D802D
	s_add_u32 s8, s45, s8                                      // 000000003904: 8008082D
	s_addc_u32 s9, 0, s9                                       // 000000003908: 82090980
	s_addk_i32 s33, 0x40                                       // 00000000390C: B7210040
	s_cmp_lt_i32 s33, s34                                      // 000000003910: BF042221
	s_cbranch_scc0 label_06A0                                  // 000000003914: BF8402DA
	s_waitcnt vmcnt(12) lgkmcnt(0)                             // 000000003918: BF8C007C
	s_barrier                                                  // 00000000391C: BF8A0000
	v_mfma_f32_16x16x16_bf16 v[32:35], a[32:33], a[0:1], v[32:35]// 000000003920: D3E10020 1C820120
	s_add_u32 m0, 0, s47                                       // 000000003928: 807C2F80
	buffer_load_dword v15, s[4:7], 0 offen lds                 // 00000000392C: E0511000 8001000F
	v_mfma_f32_16x16x16_bf16 v[32:35], a[34:35], a[2:3], v[32:35]// 000000003934: D3E10020 1C820522
	s_add_u32 m0, 0x100, s47                                   // 00000000393C: 807C2FFF 00000100
	buffer_load_dword v16, s[4:7], 0 offen lds                 // 000000003944: E0511000 80010010
	ds_read_b128 a[16:19], v19 offset:8448                     // 00000000394C: DBFE2100 10000013
	ds_read_b128 a[20:23], v19 offset:8512                     // 000000003954: DBFE2140 14000013
	v_mfma_f32_16x16x16_bf16 v[32:35], a[36:37], a[4:5], v[32:35]// 00000000395C: D3E10020 1C820924
	s_add_u32 m0, 0x200, s47                                   // 000000003964: 807C2FFF 00000200
	buffer_load_dword v17, s[4:7], 0 offen lds                 // 00000000396C: E0511000 80010011
	v_mfma_f32_16x16x16_bf16 v[32:35], a[38:39], a[6:7], v[32:35]// 000000003974: D3E10020 1C820D26
	s_add_u32 m0, 0x300, s47                                   // 00000000397C: 807C2FFF 00000300
	buffer_load_dword v18, s[4:7], 0 offen lds                 // 000000003984: E0511000 80010012
	ds_read_b128 a[24:27], v19 offset:8960                     // 00000000398C: DBFE2300 18000013
	ds_read_b128 a[28:31], v19 offset:9024                     // 000000003994: DBFE2340 1C000013
	v_mfma_f32_16x16x16_bf16 v[36:39], a[32:33], a[8:9], v[36:39]// 00000000399C: D3E10024 1C921120
	s_add_u32 s31, 0x100, s33                                  // 0000000039A4: 801F21FF 00000100
	s_cmp_lt_u32 s31, s34                                      // 0000000039AC: BF0A221F
	s_cselect_b32 s44, s44, 0                                  // 0000000039B0: 852C802C
	s_add_u32 m0, 0, s50                                       // 0000000039B4: 807C3280
	buffer_load_dword v20, s[8:11], 0 offen lds                // 0000000039B8: E0511000 80020014
	v_mfma_f32_16x16x16_bf16 v[36:39], a[34:35], a[10:11], v[36:39]// 0000000039C0: D3E10024 1C921522
	s_add_u32 m0, 0x100, s50                                   // 0000000039C8: 807C32FF 00000100
	buffer_load_dword v21, s[8:11], 0 offen lds                // 0000000039D0: E0511000 80020015
	s_add_u32 s4, s44, s4                                      // 0000000039D8: 8004042C
	s_addc_u32 s5, 0, s5                                       // 0000000039DC: 82050580
	ds_read_b128 a[40:43], v28 offset:29312                    // 0000000039E0: DBFE7280 2800001C
	ds_read_b128 a[44:47], v28 offset:29376                    // 0000000039E8: DBFE72C0 2C00001C
	v_mfma_f32_16x16x16_bf16 v[36:39], a[36:37], a[12:13], v[36:39]// 0000000039F0: D3E10024 1C921924
	s_add_u32 m0, 0x200, s50                                   // 0000000039F8: 807C32FF 00000200
	buffer_load_dword v22, s[8:11], 0 offen lds                // 000000003A00: E0511000 80020016
	v_mfma_f32_16x16x16_bf16 v[36:39], a[38:39], a[14:15], v[36:39]// 000000003A08: D3E10024 1C921D26
	s_add_u32 m0, 0x300, s50                                   // 000000003A10: 807C32FF 00000300
	buffer_load_dword v23, s[8:11], 0 offen lds                // 000000003A18: E0511000 80020017
	s_add_u32 m0, 0x400, s50                                   // 000000003A20: 807C32FF 00000400
	buffer_load_dword v24, s[8:11], 0 offen lds                // 000000003A28: E0511000 80020018
	s_add_u32 m0, 0x500, s50                                   // 000000003A30: 807C32FF 00000500
	buffer_load_dword v25, s[8:11], 0 offen lds                // 000000003A38: E0511000 80020019
	s_add_u32 m0, 0x600, s50                                   // 000000003A40: 807C32FF 00000600
	buffer_load_dword v26, s[8:11], 0 offen lds                // 000000003A48: E0511000 8002001A
	s_add_u32 m0, 0x700, s50                                   // 000000003A50: 807C32FF 00000700
	buffer_load_dword v27, s[8:11], 0 offen lds                // 000000003A58: E0511000 8002001B
	s_add_u32 s31, 0x100, s33                                  // 000000003A60: 801F21FF 00000100
	s_cmp_lt_u32 s31, s34                                      // 000000003A68: BF0A221F
	s_cselect_b32 s45, s45, 0                                  // 000000003A6C: 852D802D
	s_add_u32 s8, s45, s8                                      // 000000003A70: 8008082D
	s_addc_u32 s9, 0, s9                                       // 000000003A74: 82090980
	s_addk_i32 s33, 0x40                                       // 000000003A78: B7210040
	s_cmp_lt_i32 s33, s34                                      // 000000003A7C: BF042221
	s_cbranch_scc0 label_06A0                                  // 000000003A80: BF84027F
	s_waitcnt vmcnt(12) lgkmcnt(0)                             // 000000003A84: BF8C007C
	s_barrier                                                  // 000000003A88: BF8A0000
	v_mfma_f32_16x16x16_bf16 v[32:35], a[40:41], a[16:17], v[32:35]// 000000003A8C: D3E10020 1C822128
	s_add_u32 m0, 0, s48                                       // 000000003A94: 807C3080
	buffer_load_dword v15, s[4:7], 0 offen lds                 // 000000003A98: E0511000 8001000F
	v_mfma_f32_16x16x16_bf16 v[32:35], a[42:43], a[18:19], v[32:35]// 000000003AA0: D3E10020 1C82252A
	s_add_u32 m0, 0x100, s48                                   // 000000003AA8: 807C30FF 00000100
	buffer_load_dword v16, s[4:7], 0 offen lds                 // 000000003AB0: E0511000 80010010
	ds_read_b128 a[0:3], v19                                   // 000000003AB8: DBFE0000 00000013
	ds_read_b128 a[4:7], v19 offset:64                         // 000000003AC0: DBFE0040 04000013
	v_mfma_f32_16x16x16_bf16 v[32:35], a[44:45], a[20:21], v[32:35]// 000000003AC8: D3E10020 1C82292C
	s_add_u32 m0, 0x200, s48                                   // 000000003AD0: 807C30FF 00000200
	buffer_load_dword v17, s[4:7], 0 offen lds                 // 000000003AD8: E0511000 80010011
	v_mfma_f32_16x16x16_bf16 v[32:35], a[46:47], a[22:23], v[32:35]// 000000003AE0: D3E10020 1C822D2E
	s_add_u32 m0, 0x300, s48                                   // 000000003AE8: 807C30FF 00000300
	buffer_load_dword v18, s[4:7], 0 offen lds                 // 000000003AF0: E0511000 80010012
	ds_read_b128 a[8:11], v19 offset:512                       // 000000003AF8: DBFE0200 08000013
	ds_read_b128 a[12:15], v19 offset:576                      // 000000003B00: DBFE0240 0C000013
	v_mfma_f32_16x16x16_bf16 v[36:39], a[40:41], a[24:25], v[36:39]// 000000003B08: D3E10024 1C923128
	s_add_u32 s31, 0x100, s33                                  // 000000003B10: 801F21FF 00000100
	s_cmp_lt_u32 s31, s34                                      // 000000003B18: BF0A221F
	s_cselect_b32 s44, s44, 0                                  // 000000003B1C: 852C802C
	s_add_u32 m0, 0, s51                                       // 000000003B20: 807C3380
	buffer_load_dword v20, s[8:11], 0 offen lds                // 000000003B24: E0511000 80020014
	v_mfma_f32_16x16x16_bf16 v[36:39], a[42:43], a[26:27], v[36:39]// 000000003B2C: D3E10024 1C92352A
	s_add_u32 m0, 0x100, s51                                   // 000000003B34: 807C33FF 00000100
	buffer_load_dword v21, s[8:11], 0 offen lds                // 000000003B3C: E0511000 80020015
	s_add_u32 s4, s44, s4                                      // 000000003B44: 8004042C
	s_addc_u32 s5, 0, s5                                       // 000000003B48: 82050580
	ds_read_b128 a[32:35], v28 offset:12672                    // 000000003B4C: DBFE3180 2000001C
	ds_read_b128 a[36:39], v28 offset:12736                    // 000000003B54: DBFE31C0 2400001C
	v_mfma_f32_16x16x16_bf16 v[36:39], a[44:45], a[28:29], v[36:39]// 000000003B5C: D3E10024 1C92392C
	s_add_u32 m0, 0x200, s51                                   // 000000003B64: 807C33FF 00000200
	buffer_load_dword v22, s[8:11], 0 offen lds                // 000000003B6C: E0511000 80020016
	v_mfma_f32_16x16x16_bf16 v[36:39], a[46:47], a[30:31], v[36:39]// 000000003B74: D3E10024 1C923D2E
	s_add_u32 m0, 0x300, s51                                   // 000000003B7C: 807C33FF 00000300
	buffer_load_dword v23, s[8:11], 0 offen lds                // 000000003B84: E0511000 80020017
	s_add_u32 m0, 0x400, s51                                   // 000000003B8C: 807C33FF 00000400
	buffer_load_dword v24, s[8:11], 0 offen lds                // 000000003B94: E0511000 80020018
	s_add_u32 m0, 0x500, s51                                   // 000000003B9C: 807C33FF 00000500
	buffer_load_dword v25, s[8:11], 0 offen lds                // 000000003BA4: E0511000 80020019
	s_add_u32 m0, 0x600, s51                                   // 000000003BAC: 807C33FF 00000600
	buffer_load_dword v26, s[8:11], 0 offen lds                // 000000003BB4: E0511000 8002001A
	s_add_u32 m0, 0x700, s51                                   // 000000003BBC: 807C33FF 00000700
	buffer_load_dword v27, s[8:11], 0 offen lds                // 000000003BC4: E0511000 8002001B
	s_add_u32 s31, 0x100, s33                                  // 000000003BCC: 801F21FF 00000100
	s_cmp_lt_u32 s31, s34                                      // 000000003BD4: BF0A221F
	s_cselect_b32 s45, s45, 0                                  // 000000003BD8: 852D802D
	s_add_u32 s8, s45, s8                                      // 000000003BDC: 8008082D
	s_addc_u32 s9, 0, s9                                       // 000000003BE0: 82090980
	s_addk_i32 s33, 0x40                                       // 000000003BE4: B7210040
	s_cmp_lt_i32 s33, s34                                      // 000000003BE8: BF042221
	s_cbranch_scc0 label_06A0                                  // 000000003BEC: BF840224
	s_branch label_025A                                        // 000000003BF0: BF82FDDD

0000000000003bf4 <label_047D>:
	s_waitcnt vmcnt(12) lgkmcnt(0)                             // 000000003BF4: BF8C007C
	s_barrier                                                  // 000000003BF8: BF8A0000
	v_mfma_f32_16x16x16_bf16 v[32:35], a[32:33], a[0:1], v[32:35]// 000000003BFC: D3E10020 1C820120
	s_add_u32 m0, 0, s46                                       // 000000003C04: 807C2E80
	buffer_load_dword v15, s[4:7], 0 offen lds                 // 000000003C08: E0511000 8001000F
	ds_read_b128 a[16:19], v19 offset:4224                     // 000000003C10: DBFE1080 10000013
	ds_read_b128 a[20:23], v19 offset:4288                     // 000000003C18: DBFE10C0 14000013
	v_mfma_f32_16x16x16_bf16 v[32:35], a[34:35], a[2:3], v[32:35]// 000000003C20: D3E10020 1C820522
	s_add_u32 m0, 0x100, s46                                   // 000000003C28: 807C2EFF 00000100
	buffer_load_dword v16, s[4:7], 0 offen lds                 // 000000003C30: E0511000 80010010
	v_mfma_f32_16x16x16_bf16 v[32:35], a[36:37], a[4:5], v[32:35]// 000000003C38: D3E10020 1C820924
	s_add_u32 m0, 0x200, s46                                   // 000000003C40: 807C2EFF 00000200
	buffer_load_dword v17, s[4:7], 0 offen lds                 // 000000003C48: E0511000 80010011
	ds_read_b128 a[24:27], v19 offset:4736                     // 000000003C50: DBFE1280 18000013
	ds_read_b128 a[28:31], v19 offset:4800                     // 000000003C58: DBFE12C0 1C000013
	v_mfma_f32_16x16x16_bf16 v[32:35], a[38:39], a[6:7], v[32:35]// 000000003C60: D3E10020 1C820D26
	s_add_u32 m0, 0x300, s46                                   // 000000003C68: 807C2EFF 00000300
	buffer_load_dword v18, s[4:7], 0 offen lds                 // 000000003C70: E0511000 80010012
	v_mfma_f32_16x16x16_bf16 v[36:39], a[32:33], a[8:9], v[36:39]// 000000003C78: D3E10024 1C921120
	s_add_u32 s31, 0x100, s33                                  // 000000003C80: 801F21FF 00000100
	s_cmp_lt_u32 s31, s34                                      // 000000003C88: BF0A221F
	s_cselect_b32 s44, s44, 0                                  // 000000003C8C: 852C802C
	s_add_u32 m0, 0, s49                                       // 000000003C90: 807C3180
	buffer_load_dword v20, s[8:11], 0 offen lds                // 000000003C94: E0511000 80020014
	s_add_u32 s4, s44, s4                                      // 000000003C9C: 8004042C
	s_addc_u32 s5, 0, s5                                       // 000000003CA0: 82050580
	ds_read_b128 a[40:43], v28 offset:20992                    // 000000003CA4: DBFE5200 2800001C
	ds_read_b128 a[44:47], v28 offset:21056                    // 000000003CAC: DBFE5240 2C00001C
	v_mfma_f32_16x16x16_bf16 v[36:39], a[34:35], a[10:11], v[36:39]// 000000003CB4: D3E10024 1C921522
	s_add_u32 m0, 0x100, s49                                   // 000000003CBC: 807C31FF 00000100
	buffer_load_dword v21, s[8:11], 0 offen lds                // 000000003CC4: E0511000 80020015
	v_mfma_f32_16x16x16_bf16 v[36:39], a[36:37], a[12:13], v[36:39]// 000000003CCC: D3E10024 1C921924
	s_add_u32 m0, 0x200, s49                                   // 000000003CD4: 807C31FF 00000200
	buffer_load_dword v22, s[8:11], 0 offen lds                // 000000003CDC: E0511000 80020016
	v_mfma_f32_16x16x16_bf16 v[36:39], a[38:39], a[14:15], v[36:39]// 000000003CE4: D3E10024 1C921D26
	s_add_u32 m0, 0x300, s49                                   // 000000003CEC: 807C31FF 00000300
	buffer_load_dword v23, s[8:11], 0 offen lds                // 000000003CF4: E0511000 80020017
	s_add_u32 m0, 0x400, s49                                   // 000000003CFC: 807C31FF 00000400
	buffer_load_dword v24, s[8:11], 0 offen lds                // 000000003D04: E0511000 80020018
	s_add_u32 m0, 0x500, s49                                   // 000000003D0C: 807C31FF 00000500
	buffer_load_dword v25, s[8:11], 0 offen lds                // 000000003D14: E0511000 80020019
	s_add_u32 m0, 0x600, s49                                   // 000000003D1C: 807C31FF 00000600
	buffer_load_dword v26, s[8:11], 0 offen lds                // 000000003D24: E0511000 8002001A
	s_add_u32 m0, 0x700, s49                                   // 000000003D2C: 807C31FF 00000700
	buffer_load_dword v27, s[8:11], 0 offen lds                // 000000003D34: E0511000 8002001B
	s_add_u32 s31, 0x100, s33                                  // 000000003D3C: 801F21FF 00000100
	s_cmp_lt_u32 s31, s34                                      // 000000003D44: BF0A221F
	s_cselect_b32 s45, s45, 0                                  // 000000003D48: 852D802D
	s_add_u32 s8, s45, s8                                      // 000000003D4C: 8008082D
	s_addc_u32 s9, 0, s9                                       // 000000003D50: 82090980
	s_addk_i32 s33, 0x40                                       // 000000003D54: B7210040
	s_cmp_lt_i32 s33, s34                                      // 000000003D58: BF042221
	s_cbranch_scc0 label_06A0                                  // 000000003D5C: BF8401C8
	s_waitcnt vmcnt(12) lgkmcnt(0)                             // 000000003D60: BF8C007C
	s_barrier                                                  // 000000003D64: BF8A0000
	v_mfma_f32_16x16x16_bf16 v[32:35], a[40:41], a[16:17], v[32:35]// 000000003D68: D3E10020 1C822128
	s_add_u32 m0, 0, s47                                       // 000000003D70: 807C2F80
	buffer_load_dword v15, s[4:7], 0 offen lds                 // 000000003D74: E0511000 8001000F
	ds_read_b128 a[0:3], v19 offset:8448                       // 000000003D7C: DBFE2100 00000013
	ds_read_b128 a[4:7], v19 offset:8512                       // 000000003D84: DBFE2140 04000013
	v_mfma_f32_16x16x16_bf16 v[32:35], a[42:43], a[18:19], v[32:35]// 000000003D8C: D3E10020 1C82252A
	s_add_u32 m0, 0x100, s47                                   // 000000003D94: 807C2FFF 00000100
	buffer_load_dword v16, s[4:7], 0 offen lds                 // 000000003D9C: E0511000 80010010
	v_mfma_f32_16x16x16_bf16 v[32:35], a[44:45], a[20:21], v[32:35]// 000000003DA4: D3E10020 1C82292C
	s_add_u32 m0, 0x200, s47                                   // 000000003DAC: 807C2FFF 00000200
	buffer_load_dword v17, s[4:7], 0 offen lds                 // 000000003DB4: E0511000 80010011
	ds_read_b128 a[8:11], v19 offset:8960                      // 000000003DBC: DBFE2300 08000013
	ds_read_b128 a[12:15], v19 offset:9024                     // 000000003DC4: DBFE2340 0C000013
	v_mfma_f32_16x16x16_bf16 v[32:35], a[46:47], a[22:23], v[32:35]// 000000003DCC: D3E10020 1C822D2E
	s_add_u32 m0, 0x300, s47                                   // 000000003DD4: 807C2FFF 00000300
	buffer_load_dword v18, s[4:7], 0 offen lds                 // 000000003DDC: E0511000 80010012
	v_mfma_f32_16x16x16_bf16 v[36:39], a[40:41], a[24:25], v[36:39]// 000000003DE4: D3E10024 1C923128
	s_add_u32 s31, 0x100, s33                                  // 000000003DEC: 801F21FF 00000100
	s_cmp_lt_u32 s31, s34                                      // 000000003DF4: BF0A221F
	s_cselect_b32 s44, s44, 0                                  // 000000003DF8: 852C802C
	s_add_u32 m0, 0, s50                                       // 000000003DFC: 807C3280
	buffer_load_dword v20, s[8:11], 0 offen lds                // 000000003E00: E0511000 80020014
	s_add_u32 s4, s44, s4                                      // 000000003E08: 8004042C
	s_addc_u32 s5, 0, s5                                       // 000000003E0C: 82050580
	ds_read_b128 a[32:35], v28 offset:29312                    // 000000003E10: DBFE7280 2000001C
	ds_read_b128 a[36:39], v28 offset:29376                    // 000000003E18: DBFE72C0 2400001C
	v_mfma_f32_16x16x16_bf16 v[36:39], a[42:43], a[26:27], v[36:39]// 000000003E20: D3E10024 1C92352A
	s_add_u32 m0, 0x100, s50                                   // 000000003E28: 807C32FF 00000100
	buffer_load_dword v21, s[8:11], 0 offen lds                // 000000003E30: E0511000 80020015
	v_mfma_f32_16x16x16_bf16 v[36:39], a[44:45], a[28:29], v[36:39]// 000000003E38: D3E10024 1C92392C
	s_add_u32 m0, 0x200, s50                                   // 000000003E40: 807C32FF 00000200
	buffer_load_dword v22, s[8:11], 0 offen lds                // 000000003E48: E0511000 80020016
	v_mfma_f32_16x16x16_bf16 v[36:39], a[46:47], a[30:31], v[36:39]// 000000003E50: D3E10024 1C923D2E
	s_add_u32 m0, 0x300, s50                                   // 000000003E58: 807C32FF 00000300
	buffer_load_dword v23, s[8:11], 0 offen lds                // 000000003E60: E0511000 80020017
	s_add_u32 m0, 0x400, s50                                   // 000000003E68: 807C32FF 00000400
	buffer_load_dword v24, s[8:11], 0 offen lds                // 000000003E70: E0511000 80020018
	s_add_u32 m0, 0x500, s50                                   // 000000003E78: 807C32FF 00000500
	buffer_load_dword v25, s[8:11], 0 offen lds                // 000000003E80: E0511000 80020019
	s_add_u32 m0, 0x600, s50                                   // 000000003E88: 807C32FF 00000600
	buffer_load_dword v26, s[8:11], 0 offen lds                // 000000003E90: E0511000 8002001A
	s_add_u32 m0, 0x700, s50                                   // 000000003E98: 807C32FF 00000700
	buffer_load_dword v27, s[8:11], 0 offen lds                // 000000003EA0: E0511000 8002001B
	s_add_u32 s31, 0x100, s33                                  // 000000003EA8: 801F21FF 00000100
	s_cmp_lt_u32 s31, s34                                      // 000000003EB0: BF0A221F
	s_cselect_b32 s45, s45, 0                                  // 000000003EB4: 852D802D
	s_add_u32 s8, s45, s8                                      // 000000003EB8: 8008082D
	s_addc_u32 s9, 0, s9                                       // 000000003EBC: 82090980
	s_addk_i32 s33, 0x40                                       // 000000003EC0: B7210040
	s_cmp_lt_i32 s33, s34                                      // 000000003EC4: BF042221
	s_cbranch_scc0 label_06A0                                  // 000000003EC8: BF84016D
	s_waitcnt vmcnt(12) lgkmcnt(0)                             // 000000003ECC: BF8C007C
	s_barrier                                                  // 000000003ED0: BF8A0000
	v_mfma_f32_16x16x16_bf16 v[32:35], a[32:33], a[0:1], v[32:35]// 000000003ED4: D3E10020 1C820120
	s_add_u32 m0, 0, s48                                       // 000000003EDC: 807C3080
	buffer_load_dword v15, s[4:7], 0 offen lds                 // 000000003EE0: E0511000 8001000F
	ds_read_b128 a[16:19], v19                                 // 000000003EE8: DBFE0000 10000013
	ds_read_b128 a[20:23], v19 offset:64                       // 000000003EF0: DBFE0040 14000013
	v_mfma_f32_16x16x16_bf16 v[32:35], a[34:35], a[2:3], v[32:35]// 000000003EF8: D3E10020 1C820522
	s_add_u32 m0, 0x100, s48                                   // 000000003F00: 807C30FF 00000100
	buffer_load_dword v16, s[4:7], 0 offen lds                 // 000000003F08: E0511000 80010010
	v_mfma_f32_16x16x16_bf16 v[32:35], a[36:37], a[4:5], v[32:35]// 000000003F10: D3E10020 1C820924
	s_add_u32 m0, 0x200, s48                                   // 000000003F18: 807C30FF 00000200
	buffer_load_dword v17, s[4:7], 0 offen lds                 // 000000003F20: E0511000 80010011
	ds_read_b128 a[24:27], v19 offset:512                      // 000000003F28: DBFE0200 18000013
	ds_read_b128 a[28:31], v19 offset:576                      // 000000003F30: DBFE0240 1C000013
	v_mfma_f32_16x16x16_bf16 v[32:35], a[38:39], a[6:7], v[32:35]// 000000003F38: D3E10020 1C820D26
	s_add_u32 m0, 0x300, s48                                   // 000000003F40: 807C30FF 00000300
	buffer_load_dword v18, s[4:7], 0 offen lds                 // 000000003F48: E0511000 80010012
	v_mfma_f32_16x16x16_bf16 v[36:39], a[32:33], a[8:9], v[36:39]// 000000003F50: D3E10024 1C921120
	s_add_u32 s31, 0x100, s33                                  // 000000003F58: 801F21FF 00000100
	s_cmp_lt_u32 s31, s34                                      // 000000003F60: BF0A221F
	s_cselect_b32 s44, s44, 0                                  // 000000003F64: 852C802C
	s_add_u32 m0, 0, s51                                       // 000000003F68: 807C3380
	buffer_load_dword v20, s[8:11], 0 offen lds                // 000000003F6C: E0511000 80020014
	s_add_u32 s4, s44, s4                                      // 000000003F74: 8004042C
	s_addc_u32 s5, 0, s5                                       // 000000003F78: 82050580
	ds_read_b128 a[40:43], v28 offset:12672                    // 000000003F7C: DBFE3180 2800001C
	ds_read_b128 a[44:47], v28 offset:12736                    // 000000003F84: DBFE31C0 2C00001C
	v_mfma_f32_16x16x16_bf16 v[36:39], a[34:35], a[10:11], v[36:39]// 000000003F8C: D3E10024 1C921522
	s_add_u32 m0, 0x100, s51                                   // 000000003F94: 807C33FF 00000100
	buffer_load_dword v21, s[8:11], 0 offen lds                // 000000003F9C: E0511000 80020015
	v_mfma_f32_16x16x16_bf16 v[36:39], a[36:37], a[12:13], v[36:39]// 000000003FA4: D3E10024 1C921924
	s_add_u32 m0, 0x200, s51                                   // 000000003FAC: 807C33FF 00000200
	buffer_load_dword v22, s[8:11], 0 offen lds                // 000000003FB4: E0511000 80020016
	v_mfma_f32_16x16x16_bf16 v[36:39], a[38:39], a[14:15], v[36:39]// 000000003FBC: D3E10024 1C921D26
	s_add_u32 m0, 0x300, s51                                   // 000000003FC4: 807C33FF 00000300
	buffer_load_dword v23, s[8:11], 0 offen lds                // 000000003FCC: E0511000 80020017
	s_add_u32 m0, 0x400, s51                                   // 000000003FD4: 807C33FF 00000400
	buffer_load_dword v24, s[8:11], 0 offen lds                // 000000003FDC: E0511000 80020018
	s_add_u32 m0, 0x500, s51                                   // 000000003FE4: 807C33FF 00000500
	buffer_load_dword v25, s[8:11], 0 offen lds                // 000000003FEC: E0511000 80020019
	s_add_u32 m0, 0x600, s51                                   // 000000003FF4: 807C33FF 00000600
	buffer_load_dword v26, s[8:11], 0 offen lds                // 000000003FFC: E0511000 8002001A
	s_add_u32 m0, 0x700, s51                                   // 000000004004: 807C33FF 00000700
	buffer_load_dword v27, s[8:11], 0 offen lds                // 00000000400C: E0511000 8002001B
	s_add_u32 s31, 0x100, s33                                  // 000000004014: 801F21FF 00000100
	s_cmp_lt_u32 s31, s34                                      // 00000000401C: BF0A221F
	s_cselect_b32 s45, s45, 0                                  // 000000004020: 852D802D
	s_add_u32 s8, s45, s8                                      // 000000004024: 8008082D
	s_addc_u32 s9, 0, s9                                       // 000000004028: 82090980
	s_addk_i32 s33, 0x40                                       // 00000000402C: B7210040
	s_cmp_lt_i32 s33, s34                                      // 000000004030: BF042221
	s_cbranch_scc0 label_06A0                                  // 000000004034: BF840112
	s_waitcnt vmcnt(12) lgkmcnt(0)                             // 000000004038: BF8C007C
	s_barrier                                                  // 00000000403C: BF8A0000
	v_mfma_f32_16x16x16_bf16 v[32:35], a[40:41], a[16:17], v[32:35]// 000000004040: D3E10020 1C822128
	s_add_u32 m0, 0, s46                                       // 000000004048: 807C2E80
	buffer_load_dword v15, s[4:7], 0 offen lds                 // 00000000404C: E0511000 8001000F
	ds_read_b128 a[0:3], v19 offset:4224                       // 000000004054: DBFE1080 00000013
	ds_read_b128 a[4:7], v19 offset:4288                       // 00000000405C: DBFE10C0 04000013
	v_mfma_f32_16x16x16_bf16 v[32:35], a[42:43], a[18:19], v[32:35]// 000000004064: D3E10020 1C82252A
	s_add_u32 m0, 0x100, s46                                   // 00000000406C: 807C2EFF 00000100
	buffer_load_dword v16, s[4:7], 0 offen lds                 // 000000004074: E0511000 80010010
	v_mfma_f32_16x16x16_bf16 v[32:35], a[44:45], a[20:21], v[32:35]// 00000000407C: D3E10020 1C82292C
	s_add_u32 m0, 0x200, s46                                   // 000000004084: 807C2EFF 00000200
	buffer_load_dword v17, s[4:7], 0 offen lds                 // 00000000408C: E0511000 80010011
	ds_read_b128 a[8:11], v19 offset:4736                      // 000000004094: DBFE1280 08000013
	ds_read_b128 a[12:15], v19 offset:4800                     // 00000000409C: DBFE12C0 0C000013
	v_mfma_f32_16x16x16_bf16 v[32:35], a[46:47], a[22:23], v[32:35]// 0000000040A4: D3E10020 1C822D2E
	s_add_u32 m0, 0x300, s46                                   // 0000000040AC: 807C2EFF 00000300
	buffer_load_dword v18, s[4:7], 0 offen lds                 // 0000000040B4: E0511000 80010012
	v_mfma_f32_16x16x16_bf16 v[36:39], a[40:41], a[24:25], v[36:39]// 0000000040BC: D3E10024 1C923128
	s_add_u32 s31, 0x100, s33                                  // 0000000040C4: 801F21FF 00000100
	s_cmp_lt_u32 s31, s34                                      // 0000000040CC: BF0A221F
	s_cselect_b32 s44, s44, 0                                  // 0000000040D0: 852C802C
	s_add_u32 m0, 0, s49                                       // 0000000040D4: 807C3180
	buffer_load_dword v20, s[8:11], 0 offen lds                // 0000000040D8: E0511000 80020014
	s_add_u32 s4, s44, s4                                      // 0000000040E0: 8004042C
	s_addc_u32 s5, 0, s5                                       // 0000000040E4: 82050580
	ds_read_b128 a[32:35], v28 offset:20992                    // 0000000040E8: DBFE5200 2000001C
	ds_read_b128 a[36:39], v28 offset:21056                    // 0000000040F0: DBFE5240 2400001C
	v_mfma_f32_16x16x16_bf16 v[36:39], a[42:43], a[26:27], v[36:39]// 0000000040F8: D3E10024 1C92352A
	s_add_u32 m0, 0x100, s49                                   // 000000004100: 807C31FF 00000100
	buffer_load_dword v21, s[8:11], 0 offen lds                // 000000004108: E0511000 80020015
	v_mfma_f32_16x16x16_bf16 v[36:39], a[44:45], a[28:29], v[36:39]// 000000004110: D3E10024 1C92392C
	s_add_u32 m0, 0x200, s49                                   // 000000004118: 807C31FF 00000200
	buffer_load_dword v22, s[8:11], 0 offen lds                // 000000004120: E0511000 80020016
	v_mfma_f32_16x16x16_bf16 v[36:39], a[46:47], a[30:31], v[36:39]// 000000004128: D3E10024 1C923D2E
	s_add_u32 m0, 0x300, s49                                   // 000000004130: 807C31FF 00000300
	buffer_load_dword v23, s[8:11], 0 offen lds                // 000000004138: E0511000 80020017
	s_add_u32 m0, 0x400, s49                                   // 000000004140: 807C31FF 00000400
	buffer_load_dword v24, s[8:11], 0 offen lds                // 000000004148: E0511000 80020018
	;; [unrolled: 2-line block ×3, first 2 shown]
	s_add_u32 m0, 0x600, s49                                   // 000000004160: 807C31FF 00000600
	buffer_load_dword v26, s[8:11], 0 offen lds                // 000000004168: E0511000 8002001A
	s_add_u32 m0, 0x700, s49                                   // 000000004170: 807C31FF 00000700
	buffer_load_dword v27, s[8:11], 0 offen lds                // 000000004178: E0511000 8002001B
	s_add_u32 s31, 0x100, s33                                  // 000000004180: 801F21FF 00000100
	s_cmp_lt_u32 s31, s34                                      // 000000004188: BF0A221F
	s_cselect_b32 s45, s45, 0                                  // 00000000418C: 852D802D
	s_add_u32 s8, s45, s8                                      // 000000004190: 8008082D
	s_addc_u32 s9, 0, s9                                       // 000000004194: 82090980
	s_addk_i32 s33, 0x40                                       // 000000004198: B7210040
	s_cmp_lt_i32 s33, s34                                      // 00000000419C: BF042221
	s_cbranch_scc0 label_06A0                                  // 0000000041A0: BF8400B7
	s_waitcnt vmcnt(12) lgkmcnt(0)                             // 0000000041A4: BF8C007C
	s_barrier                                                  // 0000000041A8: BF8A0000
	v_mfma_f32_16x16x16_bf16 v[32:35], a[32:33], a[0:1], v[32:35]// 0000000041AC: D3E10020 1C820120
	s_add_u32 m0, 0, s47                                       // 0000000041B4: 807C2F80
	buffer_load_dword v15, s[4:7], 0 offen lds                 // 0000000041B8: E0511000 8001000F
	ds_read_b128 a[16:19], v19 offset:8448                     // 0000000041C0: DBFE2100 10000013
	ds_read_b128 a[20:23], v19 offset:8512                     // 0000000041C8: DBFE2140 14000013
	v_mfma_f32_16x16x16_bf16 v[32:35], a[34:35], a[2:3], v[32:35]// 0000000041D0: D3E10020 1C820522
	s_add_u32 m0, 0x100, s47                                   // 0000000041D8: 807C2FFF 00000100
	buffer_load_dword v16, s[4:7], 0 offen lds                 // 0000000041E0: E0511000 80010010
	v_mfma_f32_16x16x16_bf16 v[32:35], a[36:37], a[4:5], v[32:35]// 0000000041E8: D3E10020 1C820924
	s_add_u32 m0, 0x200, s47                                   // 0000000041F0: 807C2FFF 00000200
	buffer_load_dword v17, s[4:7], 0 offen lds                 // 0000000041F8: E0511000 80010011
	ds_read_b128 a[24:27], v19 offset:8960                     // 000000004200: DBFE2300 18000013
	ds_read_b128 a[28:31], v19 offset:9024                     // 000000004208: DBFE2340 1C000013
	v_mfma_f32_16x16x16_bf16 v[32:35], a[38:39], a[6:7], v[32:35]// 000000004210: D3E10020 1C820D26
	s_add_u32 m0, 0x300, s47                                   // 000000004218: 807C2FFF 00000300
	buffer_load_dword v18, s[4:7], 0 offen lds                 // 000000004220: E0511000 80010012
	v_mfma_f32_16x16x16_bf16 v[36:39], a[32:33], a[8:9], v[36:39]// 000000004228: D3E10024 1C921120
	s_add_u32 s31, 0x100, s33                                  // 000000004230: 801F21FF 00000100
	s_cmp_lt_u32 s31, s34                                      // 000000004238: BF0A221F
	s_cselect_b32 s44, s44, 0                                  // 00000000423C: 852C802C
	s_add_u32 m0, 0, s50                                       // 000000004240: 807C3280
	buffer_load_dword v20, s[8:11], 0 offen lds                // 000000004244: E0511000 80020014
	s_add_u32 s4, s44, s4                                      // 00000000424C: 8004042C
	s_addc_u32 s5, 0, s5                                       // 000000004250: 82050580
	ds_read_b128 a[40:43], v28 offset:29312                    // 000000004254: DBFE7280 2800001C
	ds_read_b128 a[44:47], v28 offset:29376                    // 00000000425C: DBFE72C0 2C00001C
	v_mfma_f32_16x16x16_bf16 v[36:39], a[34:35], a[10:11], v[36:39]// 000000004264: D3E10024 1C921522
	s_add_u32 m0, 0x100, s50                                   // 00000000426C: 807C32FF 00000100
	buffer_load_dword v21, s[8:11], 0 offen lds                // 000000004274: E0511000 80020015
	v_mfma_f32_16x16x16_bf16 v[36:39], a[36:37], a[12:13], v[36:39]// 00000000427C: D3E10024 1C921924
	s_add_u32 m0, 0x200, s50                                   // 000000004284: 807C32FF 00000200
	buffer_load_dword v22, s[8:11], 0 offen lds                // 00000000428C: E0511000 80020016
	v_mfma_f32_16x16x16_bf16 v[36:39], a[38:39], a[14:15], v[36:39]// 000000004294: D3E10024 1C921D26
	s_add_u32 m0, 0x300, s50                                   // 00000000429C: 807C32FF 00000300
	buffer_load_dword v23, s[8:11], 0 offen lds                // 0000000042A4: E0511000 80020017
	s_add_u32 m0, 0x400, s50                                   // 0000000042AC: 807C32FF 00000400
	buffer_load_dword v24, s[8:11], 0 offen lds                // 0000000042B4: E0511000 80020018
	s_add_u32 m0, 0x500, s50                                   // 0000000042BC: 807C32FF 00000500
	buffer_load_dword v25, s[8:11], 0 offen lds                // 0000000042C4: E0511000 80020019
	s_add_u32 m0, 0x600, s50                                   // 0000000042CC: 807C32FF 00000600
	buffer_load_dword v26, s[8:11], 0 offen lds                // 0000000042D4: E0511000 8002001A
	s_add_u32 m0, 0x700, s50                                   // 0000000042DC: 807C32FF 00000700
	buffer_load_dword v27, s[8:11], 0 offen lds                // 0000000042E4: E0511000 8002001B
	s_add_u32 s31, 0x100, s33                                  // 0000000042EC: 801F21FF 00000100
	s_cmp_lt_u32 s31, s34                                      // 0000000042F4: BF0A221F
	s_cselect_b32 s45, s45, 0                                  // 0000000042F8: 852D802D
	s_add_u32 s8, s45, s8                                      // 0000000042FC: 8008082D
	s_addc_u32 s9, 0, s9                                       // 000000004300: 82090980
	s_addk_i32 s33, 0x40                                       // 000000004304: B7210040
	s_cmp_lt_i32 s33, s34                                      // 000000004308: BF042221
	s_cbranch_scc0 label_06A0                                  // 00000000430C: BF84005C
	s_waitcnt vmcnt(12) lgkmcnt(0)                             // 000000004310: BF8C007C
	s_barrier                                                  // 000000004314: BF8A0000
	v_mfma_f32_16x16x16_bf16 v[32:35], a[40:41], a[16:17], v[32:35]// 000000004318: D3E10020 1C822128
	s_add_u32 m0, 0, s48                                       // 000000004320: 807C3080
	buffer_load_dword v15, s[4:7], 0 offen lds                 // 000000004324: E0511000 8001000F
	ds_read_b128 a[0:3], v19                                   // 00000000432C: DBFE0000 00000013
	ds_read_b128 a[4:7], v19 offset:64                         // 000000004334: DBFE0040 04000013
	v_mfma_f32_16x16x16_bf16 v[32:35], a[42:43], a[18:19], v[32:35]// 00000000433C: D3E10020 1C82252A
	s_add_u32 m0, 0x100, s48                                   // 000000004344: 807C30FF 00000100
	buffer_load_dword v16, s[4:7], 0 offen lds                 // 00000000434C: E0511000 80010010
	v_mfma_f32_16x16x16_bf16 v[32:35], a[44:45], a[20:21], v[32:35]// 000000004354: D3E10020 1C82292C
	s_add_u32 m0, 0x200, s48                                   // 00000000435C: 807C30FF 00000200
	buffer_load_dword v17, s[4:7], 0 offen lds                 // 000000004364: E0511000 80010011
	ds_read_b128 a[8:11], v19 offset:512                       // 00000000436C: DBFE0200 08000013
	ds_read_b128 a[12:15], v19 offset:576                      // 000000004374: DBFE0240 0C000013
	v_mfma_f32_16x16x16_bf16 v[32:35], a[46:47], a[22:23], v[32:35]// 00000000437C: D3E10020 1C822D2E
	s_add_u32 m0, 0x300, s48                                   // 000000004384: 807C30FF 00000300
	buffer_load_dword v18, s[4:7], 0 offen lds                 // 00000000438C: E0511000 80010012
	v_mfma_f32_16x16x16_bf16 v[36:39], a[40:41], a[24:25], v[36:39]// 000000004394: D3E10024 1C923128
	s_add_u32 s31, 0x100, s33                                  // 00000000439C: 801F21FF 00000100
	s_cmp_lt_u32 s31, s34                                      // 0000000043A4: BF0A221F
	s_cselect_b32 s44, s44, 0                                  // 0000000043A8: 852C802C
	s_add_u32 m0, 0, s51                                       // 0000000043AC: 807C3380
	buffer_load_dword v20, s[8:11], 0 offen lds                // 0000000043B0: E0511000 80020014
	s_add_u32 s4, s44, s4                                      // 0000000043B8: 8004042C
	s_addc_u32 s5, 0, s5                                       // 0000000043BC: 82050580
	ds_read_b128 a[32:35], v28 offset:12672                    // 0000000043C0: DBFE3180 2000001C
	ds_read_b128 a[36:39], v28 offset:12736                    // 0000000043C8: DBFE31C0 2400001C
	v_mfma_f32_16x16x16_bf16 v[36:39], a[42:43], a[26:27], v[36:39]// 0000000043D0: D3E10024 1C92352A
	s_add_u32 m0, 0x100, s51                                   // 0000000043D8: 807C33FF 00000100
	buffer_load_dword v21, s[8:11], 0 offen lds                // 0000000043E0: E0511000 80020015
	v_mfma_f32_16x16x16_bf16 v[36:39], a[44:45], a[28:29], v[36:39]// 0000000043E8: D3E10024 1C92392C
	s_add_u32 m0, 0x200, s51                                   // 0000000043F0: 807C33FF 00000200
	buffer_load_dword v22, s[8:11], 0 offen lds                // 0000000043F8: E0511000 80020016
	v_mfma_f32_16x16x16_bf16 v[36:39], a[46:47], a[30:31], v[36:39]// 000000004400: D3E10024 1C923D2E
	s_add_u32 m0, 0x300, s51                                   // 000000004408: 807C33FF 00000300
	buffer_load_dword v23, s[8:11], 0 offen lds                // 000000004410: E0511000 80020017
	s_add_u32 m0, 0x400, s51                                   // 000000004418: 807C33FF 00000400
	buffer_load_dword v24, s[8:11], 0 offen lds                // 000000004420: E0511000 80020018
	s_add_u32 m0, 0x500, s51                                   // 000000004428: 807C33FF 00000500
	buffer_load_dword v25, s[8:11], 0 offen lds                // 000000004430: E0511000 80020019
	s_add_u32 m0, 0x600, s51                                   // 000000004438: 807C33FF 00000600
	buffer_load_dword v26, s[8:11], 0 offen lds                // 000000004440: E0511000 8002001A
	s_add_u32 m0, 0x700, s51                                   // 000000004448: 807C33FF 00000700
	buffer_load_dword v27, s[8:11], 0 offen lds                // 000000004450: E0511000 8002001B
	s_add_u32 s31, 0x100, s33                                  // 000000004458: 801F21FF 00000100
	s_cmp_lt_u32 s31, s34                                      // 000000004460: BF0A221F
	s_cselect_b32 s45, s45, 0                                  // 000000004464: 852D802D
	s_add_u32 s8, s45, s8                                      // 000000004468: 8008082D
	s_addc_u32 s9, 0, s9                                       // 00000000446C: 82090980
	s_addk_i32 s33, 0x40                                       // 000000004470: B7210040
	s_cmp_lt_i32 s33, s34                                      // 000000004474: BF042221
	s_cbranch_scc0 label_06A0                                  // 000000004478: BF840001
	s_branch label_047D                                        // 00000000447C: BF82FDDD

0000000000004480 <label_06A0>:
	s_cmp_le_u32 s52, 1                                        // 000000004480: BF0B8134
	s_cbranch_scc1 label_08CF                                  // 000000004484: BF85022D
	s_mov_b32 s31, 32                                          // 000000004488: BE9F00A0
	s_cmp_lt_u32 s55, s31                                      // 00000000448C: BF0A1F37
	s_cbranch_scc1 label_0786                                  // 000000004490: BF8500E1
	v_mov_b32_e32 v5, 0                                        // 000000004494: 7E0A0280
	s_and_b32 s17, s17, 0xffff                                 // 000000004498: 8611FF11 0000FFFF
	s_cmp_lt_u32 s54, 1                                        // 0000000044A0: BF0A8136
	s_cbranch_scc0 label_0707                                  // 0000000044A4: BF84005D
	v_lshrrev_b32_e32 v4, 4, v0                                // 0000000044A8: 20080084
	v_mul_u32_u24_e32 v19, 0x44, v4                            // 0000000044AC: 102608FF 00000044
	v_and_b32_e32 v4, 15, v0                                   // 0000000044B4: 2608008F
	v_mul_lo_u32 v5, 4, v4                                     // 0000000044B8: D2850005 00020884
	v_add_u32_e32 v19, v5, v19                                 // 0000000044C0: 68262705
	s_mul_i32 s31, s24, 0x110                                  // 0000000044C4: 921FFF18 00000110
	v_add_u32_e32 v19, s31, v19                                // 0000000044CC: 6826261F
	v_lshlrev_b32_e32 v19, 2, v19                              // 0000000044D0: 24262682
	v_lshrrev_b32_e32 v4, 2, v0                                // 0000000044D4: 20080082
	v_mul_u32_u24_e32 v28, 0x44, v4                            // 0000000044D8: 103808FF 00000044
	v_and_b32_e32 v4, 3, v0                                    // 0000000044E0: 26080083
	v_add_u32_e32 v28, v4, v28                                 // 0000000044E4: 68383904
	s_mul_i32 s31, s24, 4                                      // 0000000044E8: 921F8418
	v_add_u32_e32 v28, s31, v28                                // 0000000044EC: 6838381F
	v_lshlrev_b32_e32 v28, 2, v28                              // 0000000044F0: 24383882
	s_waitcnt vmcnt(0) expcnt(0) lgkmcnt(0)                    // 0000000044F4: BF8C0000
	s_barrier                                                  // 0000000044F8: BF8A0000
	ds_write_b128 v19, v[32:35]                                // 0000000044FC: D9BE0000 00002013
	ds_write_b128 v19, v[36:39] offset:4352                    // 000000004504: D9BE1100 00002413
	s_waitcnt lgkmcnt(0)                                       // 00000000450C: BF8CC07F
	s_barrier                                                  // 000000004510: BF8A0000
	ds_read_b32 v32, v28                                       // 000000004514: D86C0000 2000001C
	ds_read_b32 v33, v28 offset:64                             // 00000000451C: D86C0040 2100001C
	ds_read_b32 v34, v28 offset:128                            // 000000004524: D86C0080 2200001C
	ds_read_b32 v35, v28 offset:192                            // 00000000452C: D86C00C0 2300001C
	ds_read_b32 v36, v28 offset:4352                           // 000000004534: D86C1100 2400001C
	ds_read_b32 v37, v28 offset:4416                           // 00000000453C: D86C1140 2500001C
	ds_read_b32 v38, v28 offset:4480                           // 000000004544: D86C1180 2600001C
	ds_read_b32 v39, v28 offset:4544                           // 00000000454C: D86C11C0 2700001C
	s_waitcnt lgkmcnt(0)                                       // 000000004554: BF8CC07F
	s_cmp_eq_u32 s24, 0                                        // 000000004558: BF068018
	s_cbranch_scc0 label_06DE                                  // 00000000455C: BF840006
	s_mov_b32 s31, 0                                           // 000000004560: BE9F0080

0000000000004564 <label_06D9>:
	s_load_dword s32, s[40:41], s62 glc                        // 000000004564: C0010814 0000003E
	s_waitcnt lgkmcnt(0)                                       // 00000000456C: BF8CC07F
	s_cmp_gt_u32 s32, s31                                      // 000000004570: BF081F20
	s_cbranch_scc0 label_06D9                                  // 000000004574: BF84FFFB

0000000000004578 <label_06DE>:
	s_barrier                                                  // 000000004578: BF8A0000
	s_mul_i32 s31, s30, 4                                      // 00000000457C: 921F841E
	v_mov_b32_e32 v4, v14                                      // 000000004580: 7E08030E
	global_atomic_add_f32 v4, v32, s[16:17]                    // 000000004584: DD348000 00102004
	v_add_u32_e64 v4, v4, s31                                  // 00000000458C: D1340004 00003F04
	global_atomic_add_f32 v4, v33, s[16:17]                    // 000000004594: DD348000 00102104
	v_add_u32_e64 v4, v4, s31                                  // 00000000459C: D1340004 00003F04
	global_atomic_add_f32 v4, v34, s[16:17]                    // 0000000045A4: DD348000 00102204
	v_add_u32_e64 v4, v4, s31                                  // 0000000045AC: D1340004 00003F04
	global_atomic_add_f32 v4, v35, s[16:17]                    // 0000000045B4: DD348000 00102304
	v_add_u32_e64 v4, v4, s31                                  // 0000000045BC: D1340004 00003F04
	global_atomic_add_f32 v4, v36, s[16:17]                    // 0000000045C4: DD348000 00102404
	v_add_u32_e64 v4, v4, s31                                  // 0000000045CC: D1340004 00003F04
	global_atomic_add_f32 v4, v37, s[16:17]                    // 0000000045D4: DD348000 00102504
	v_add_u32_e64 v4, v4, s31                                  // 0000000045DC: D1340004 00003F04
	global_atomic_add_f32 v4, v38, s[16:17]                    // 0000000045E4: DD348000 00102604
	v_add_u32_e64 v4, v4, s31                                  // 0000000045EC: D1340004 00003F04
	global_atomic_add_f32 v4, v39, s[16:17]                    // 0000000045F4: DD348000 00102704
	v_add_u32_e64 v4, v4, s31                                  // 0000000045FC: D1340004 00003F04
	s_barrier                                                  // 000000004604: BF8A0000
	s_cmp_eq_u32 s24, 0                                        // 000000004608: BF068018
	s_cbranch_scc0 label_0912                                  // 00000000460C: BF84020E
	s_atomic_dec s52, s[40:41], s62                            // 000000004610: C2300D14 0000003E
	s_branch label_0912                                        // 000000004618: BF82020B

000000000000461c <label_0707>:
	v_lshrrev_b32_e32 v4, 4, v0                                // 00000000461C: 20080084
	v_mul_u32_u24_e32 v19, 34, v4                              // 000000004620: 102608A2
	v_and_b32_e32 v4, 15, v0                                   // 000000004624: 2608008F
	v_mul_lo_u32 v5, 2, v4                                     // 000000004628: D2850005 00020882
	v_add_u32_e32 v19, v5, v19                                 // 000000004630: 68262705
	s_mul_i32 s31, s24, 0x88                                   // 000000004634: 921FFF18 00000088
	v_add_u32_e32 v19, s31, v19                                // 00000000463C: 6826261F
	v_lshlrev_b32_e32 v19, 2, v19                              // 000000004640: 24262682
	v_and_b32_e32 v4, 31, v0                                   // 000000004644: 2608009F
	v_lshrrev_b32_e32 v5, 1, v4                                // 000000004648: 200A0881
	v_mul_u32_u24_e32 v28, 34, v5                              // 00000000464C: 10380AA2
	v_and_b32_e32 v5, 1, v4                                    // 000000004650: 260A0881
	v_add_u32_e32 v28, v5, v28                                 // 000000004654: 68383905
	v_lshrrev_b32_e32 v4, 5, v0                                // 000000004658: 20080085
	v_mul_u32_u24_e32 v4, 8, v4                                // 00000000465C: 10080888
	v_add_u32_e32 v28, v4, v28                                 // 000000004660: 68383904
	s_mul_i32 s31, s24, 2                                      // 000000004664: 921F8218
	v_add_u32_e32 v28, s31, v28                                // 000000004668: 6838381F
	v_lshlrev_b32_e32 v28, 2, v28                              // 00000000466C: 24383882
	s_waitcnt vmcnt(0) expcnt(0) lgkmcnt(0)                    // 000000004670: BF8C0000
	s_barrier                                                  // 000000004674: BF8A0000
	v_cmp_u_f32_e64 s[60:61], v32, v32                         // 000000004678: D048003C 00024120
	v_add3_u32 v8, v32, v11, 1                                 // 000000004680: D1FF0008 02061720
	v_cndmask_b32_e64 v4, v8, v10, s[60:61]                    // 000000004688: D1000004 00F21508
	v_cmp_u_f32_e64 s[60:61], v33, v33                         // 000000004690: D048003C 00024321
	v_add3_u32 v8, v33, v11, 1                                 // 000000004698: D1FF0008 02061721
	v_cndmask_b32_e64 v5, v8, v10, s[60:61]                    // 0000000046A0: D1000005 00F21508
	v_perm_b32 v40, v5, v4, s35                                // 0000000046A8: D1ED0028 008E0905
	v_cmp_u_f32_e64 s[60:61], v34, v34                         // 0000000046B0: D048003C 00024522
	v_add3_u32 v8, v34, v11, 1                                 // 0000000046B8: D1FF0008 02061722
	v_cndmask_b32_e64 v4, v8, v10, s[60:61]                    // 0000000046C0: D1000004 00F21508
	v_cmp_u_f32_e64 s[60:61], v35, v35                         // 0000000046C8: D048003C 00024723
	v_add3_u32 v8, v35, v11, 1                                 // 0000000046D0: D1FF0008 02061723
	v_cndmask_b32_e64 v5, v8, v10, s[60:61]                    // 0000000046D8: D1000005 00F21508
	v_perm_b32 v41, v5, v4, s35                                // 0000000046E0: D1ED0029 008E0905
	v_cmp_u_f32_e64 s[60:61], v36, v36                         // 0000000046E8: D048003C 00024924
	v_add3_u32 v8, v36, v11, 1                                 // 0000000046F0: D1FF0008 02061724
	v_cndmask_b32_e64 v4, v8, v10, s[60:61]                    // 0000000046F8: D1000004 00F21508
	v_cmp_u_f32_e64 s[60:61], v37, v37                         // 000000004700: D048003C 00024B25
	v_add3_u32 v8, v37, v11, 1                                 // 000000004708: D1FF0008 02061725
	v_cndmask_b32_e64 v5, v8, v10, s[60:61]                    // 000000004710: D1000005 00F21508
	v_perm_b32 v42, v5, v4, s35                                // 000000004718: D1ED002A 008E0905
	v_cmp_u_f32_e64 s[60:61], v38, v38                         // 000000004720: D048003C 00024D26
	v_add3_u32 v8, v38, v11, 1                                 // 000000004728: D1FF0008 02061726
	v_cndmask_b32_e64 v4, v8, v10, s[60:61]                    // 000000004730: D1000004 00F21508
	v_cmp_u_f32_e64 s[60:61], v39, v39                         // 000000004738: D048003C 00024F27
	v_add3_u32 v8, v39, v11, 1                                 // 000000004740: D1FF0008 02061727
	v_cndmask_b32_e64 v5, v8, v10, s[60:61]                    // 000000004748: D1000005 00F21508
	v_perm_b32 v43, v5, v4, s35                                // 000000004750: D1ED002B 008E0905
	ds_write_b64 v19, v[40:41]                                 // 000000004758: D89A0000 00002813
	ds_write_b64 v19, v[42:43] offset:2176                     // 000000004760: D89A0880 00002A13
	s_waitcnt lgkmcnt(0)                                       // 000000004768: BF8CC07F
	s_barrier                                                  // 00000000476C: BF8A0000
	ds_read_b32 v40, v28                                       // 000000004770: D86C0000 2800001C
	ds_read_b32 v41, v28 offset:64                             // 000000004778: D86C0040 2900001C
	ds_read_b32 v42, v28 offset:2176                           // 000000004780: D86C0880 2A00001C
	ds_read_b32 v43, v28 offset:2240                           // 000000004788: D86C08C0 2B00001C
	s_waitcnt lgkmcnt(0)                                       // 000000004790: BF8CC07F
	s_cmp_eq_u32 s24, 0                                        // 000000004794: BF068018
	s_cbranch_scc0 label_076D                                  // 000000004798: BF840006
	s_mov_b32 s31, 0                                           // 00000000479C: BE9F0080

00000000000047a0 <label_0768>:
	s_load_dword s32, s[40:41], s62 glc                        // 0000000047A0: C0010814 0000003E
	s_waitcnt lgkmcnt(0)                                       // 0000000047A8: BF8CC07F
	s_cmp_gt_u32 s32, s31                                      // 0000000047AC: BF081F20
	s_cbranch_scc0 label_0768                                  // 0000000047B0: BF84FFFB

00000000000047b4 <label_076D>:
	s_barrier                                                  // 0000000047B4: BF8A0000
	s_mul_i32 s31, s30, 8                                      // 0000000047B8: 921F881E
	v_mov_b32_e32 v4, v14                                      // 0000000047BC: 7E08030E
	global_atomic_pk_add_bf16 v4, v40, s[16:17]                // 0000000047C0: DD488000 00102804
	v_add_u32_e64 v4, v4, s31                                  // 0000000047C8: D1340004 00003F04
	global_atomic_pk_add_bf16 v4, v41, s[16:17]                // 0000000047D0: DD488000 00102904
	v_add_u32_e64 v4, v4, s31                                  // 0000000047D8: D1340004 00003F04
	global_atomic_pk_add_bf16 v4, v42, s[16:17]                // 0000000047E0: DD488000 00102A04
	v_add_u32_e64 v4, v4, s31                                  // 0000000047E8: D1340004 00003F04
	global_atomic_pk_add_bf16 v4, v43, s[16:17]                // 0000000047F0: DD488000 00102B04
	v_add_u32_e64 v4, v4, s31                                  // 0000000047F8: D1340004 00003F04
	s_barrier                                                  // 000000004800: BF8A0000
	s_cmp_eq_u32 s24, 0                                        // 000000004804: BF068018
	s_cbranch_scc0 label_0912                                  // 000000004808: BF84018F
	s_atomic_dec s52, s[40:41], s62                            // 00000000480C: C2300D14 0000003E
	s_branch label_0912                                        // 000000004814: BF82018C

0000000000004818 <label_0786>:
	v_mov_b32_e32 v5, 0                                        // 000000004818: 7E0A0280
	s_and_b32 s17, s17, 0xffff                                 // 00000000481C: 8611FF11 0000FFFF
	s_cmp_lt_u32 s54, 1                                        // 000000004824: BF0A8136
	s_cbranch_scc0 label_0806                                  // 000000004828: BF84007B
	v_lshrrev_b32_e32 v4, 4, v0                                // 00000000482C: 20080084
	v_mul_u32_u24_e32 v19, 0x44, v4                            // 000000004830: 102608FF 00000044
	v_and_b32_e32 v4, 15, v0                                   // 000000004838: 2608008F
	v_mul_lo_u32 v5, 4, v4                                     // 00000000483C: D2850005 00020884
	v_add_u32_e32 v19, v5, v19                                 // 000000004844: 68262705
	s_mul_i32 s31, s24, 0x110                                  // 000000004848: 921FFF18 00000110
	v_add_u32_e32 v19, s31, v19                                // 000000004850: 6826261F
	v_lshlrev_b32_e32 v19, 2, v19                              // 000000004854: 24262682
	v_lshrrev_b32_e32 v4, 2, v0                                // 000000004858: 20080082
	v_mul_u32_u24_e32 v28, 0x44, v4                            // 00000000485C: 103808FF 00000044
	v_and_b32_e32 v4, 3, v0                                    // 000000004864: 26080083
	v_add_u32_e32 v28, v4, v28                                 // 000000004868: 68383904
	s_mul_i32 s31, s24, 4                                      // 00000000486C: 921F8418
	v_add_u32_e32 v28, s31, v28                                // 000000004870: 6838381F
	v_lshlrev_b32_e32 v28, 2, v28                              // 000000004874: 24383882
	s_lshr_b32 s31, s55, 2                                     // 000000004878: 8F1F8237
	s_and_b32 s32, s55, 3                                      // 00000000487C: 86208337
	s_cmp_lt_u32 s24, s32                                      // 000000004880: BF0A2018
	s_cselect_b32 s32, 1, 0                                    // 000000004884: 85208081
	s_add_u32 s55, s31, s32                                    // 000000004888: 8037201F
	s_mov_b32 s33, 0                                           // 00000000488C: BEA10080
	s_waitcnt vmcnt(0) expcnt(0) lgkmcnt(0)                    // 000000004890: BF8C0000
	s_barrier                                                  // 000000004894: BF8A0000
	ds_write_b128 v19, v[32:35]                                // 000000004898: D9BE0000 00002013
	ds_write_b128 v19, v[36:39] offset:4352                    // 0000000048A0: D9BE1100 00002413
	s_waitcnt lgkmcnt(0)                                       // 0000000048A8: BF8CC07F
	s_barrier                                                  // 0000000048AC: BF8A0000
	ds_read_b32 v32, v28                                       // 0000000048B0: D86C0000 2000001C
	ds_read_b32 v33, v28 offset:64                             // 0000000048B8: D86C0040 2100001C
	ds_read_b32 v34, v28 offset:128                            // 0000000048C0: D86C0080 2200001C
	ds_read_b32 v35, v28 offset:192                            // 0000000048C8: D86C00C0 2300001C
	ds_read_b32 v36, v28 offset:4352                           // 0000000048D0: D86C1100 2400001C
	ds_read_b32 v37, v28 offset:4416                           // 0000000048D8: D86C1140 2500001C
	ds_read_b32 v38, v28 offset:4480                           // 0000000048E0: D86C1180 2600001C
	ds_read_b32 v39, v28 offset:4544                           // 0000000048E8: D86C11C0 2700001C
	s_waitcnt lgkmcnt(0)                                       // 0000000048F0: BF8CC07F
	s_cmp_eq_u32 s24, 0                                        // 0000000048F4: BF068018
	s_cbranch_scc0 label_07C5                                  // 0000000048F8: BF840006
	s_mov_b32 s31, 0                                           // 0000000048FC: BE9F0080

0000000000004900 <label_07C0>:
	s_load_dword s32, s[40:41], s62 glc                        // 000000004900: C0010814 0000003E
	s_waitcnt lgkmcnt(0)                                       // 000000004908: BF8CC07F
	s_cmp_gt_u32 s32, s31                                      // 00000000490C: BF081F20
	s_cbranch_scc0 label_07C0                                  // 000000004910: BF84FFFB

0000000000004914 <label_07C5>:
	s_barrier                                                  // 000000004914: BF8A0000
	s_mul_i32 s31, s30, 4                                      // 000000004918: 921F841E
	v_mov_b32_e32 v4, v14                                      // 00000000491C: 7E08030E
	s_cmp_lt_i32 s33, s55                                      // 000000004920: BF043721
	s_cbranch_scc0 label_0800                                  // 000000004924: BF840036
	global_atomic_add_f32 v4, v32, s[16:17]                    // 000000004928: DD348000 00102004
	v_add_u32_e64 v4, v4, s31                                  // 000000004930: D1340004 00003F04
	s_addk_i32 s33, 0x1                                        // 000000004938: B7210001
	s_cmp_lt_i32 s33, s55                                      // 00000000493C: BF043721
	s_cbranch_scc0 label_0800                                  // 000000004940: BF84002F
	global_atomic_add_f32 v4, v33, s[16:17]                    // 000000004944: DD348000 00102104
	v_add_u32_e64 v4, v4, s31                                  // 00000000494C: D1340004 00003F04
	s_addk_i32 s33, 0x1                                        // 000000004954: B7210001
	s_cmp_lt_i32 s33, s55                                      // 000000004958: BF043721
	s_cbranch_scc0 label_0800                                  // 00000000495C: BF840028
	global_atomic_add_f32 v4, v34, s[16:17]                    // 000000004960: DD348000 00102204
	v_add_u32_e64 v4, v4, s31                                  // 000000004968: D1340004 00003F04
	s_addk_i32 s33, 0x1                                        // 000000004970: B7210001
	s_cmp_lt_i32 s33, s55                                      // 000000004974: BF043721
	s_cbranch_scc0 label_0800                                  // 000000004978: BF840021
	global_atomic_add_f32 v4, v35, s[16:17]                    // 00000000497C: DD348000 00102304
	v_add_u32_e64 v4, v4, s31                                  // 000000004984: D1340004 00003F04
	s_addk_i32 s33, 0x1                                        // 00000000498C: B7210001
	s_cmp_lt_i32 s33, s55                                      // 000000004990: BF043721
	s_cbranch_scc0 label_0800                                  // 000000004994: BF84001A
	global_atomic_add_f32 v4, v36, s[16:17]                    // 000000004998: DD348000 00102404
	v_add_u32_e64 v4, v4, s31                                  // 0000000049A0: D1340004 00003F04
	s_addk_i32 s33, 0x1                                        // 0000000049A8: B7210001
	s_cmp_lt_i32 s33, s55                                      // 0000000049AC: BF043721
	s_cbranch_scc0 label_0800                                  // 0000000049B0: BF840013
	global_atomic_add_f32 v4, v37, s[16:17]                    // 0000000049B4: DD348000 00102504
	v_add_u32_e64 v4, v4, s31                                  // 0000000049BC: D1340004 00003F04
	s_addk_i32 s33, 0x1                                        // 0000000049C4: B7210001
	s_cmp_lt_i32 s33, s55                                      // 0000000049C8: BF043721
	s_cbranch_scc0 label_0800                                  // 0000000049CC: BF84000C
	global_atomic_add_f32 v4, v38, s[16:17]                    // 0000000049D0: DD348000 00102604
	v_add_u32_e64 v4, v4, s31                                  // 0000000049D8: D1340004 00003F04
	s_addk_i32 s33, 0x1                                        // 0000000049E0: B7210001
	s_cmp_lt_i32 s33, s55                                      // 0000000049E4: BF043721
	s_cbranch_scc0 label_0800                                  // 0000000049E8: BF840005
	global_atomic_add_f32 v4, v39, s[16:17]                    // 0000000049EC: DD348000 00102704
	v_add_u32_e64 v4, v4, s31                                  // 0000000049F4: D1340004 00003F04
	s_addk_i32 s33, 0x1                                        // 0000000049FC: B7210001

0000000000004a00 <label_0800>:
	s_barrier                                                  // 000000004A00: BF8A0000
	s_cmp_eq_u32 s24, 0                                        // 000000004A04: BF068018
	s_cbranch_scc0 label_0912                                  // 000000004A08: BF84010F
	s_atomic_dec s52, s[40:41], s62                            // 000000004A0C: C2300D14 0000003E
	s_branch label_0912                                        // 000000004A14: BF82010C

0000000000004a18 <label_0806>:
	v_lshrrev_b32_e32 v4, 4, v0                                // 000000004A18: 20080084
	v_mul_u32_u24_e32 v19, 34, v4                              // 000000004A1C: 102608A2
	v_and_b32_e32 v4, 15, v0                                   // 000000004A20: 2608008F
	v_mul_lo_u32 v5, 2, v4                                     // 000000004A24: D2850005 00020882
	v_add_u32_e32 v19, v5, v19                                 // 000000004A2C: 68262705
	s_mul_i32 s31, s24, 0x88                                   // 000000004A30: 921FFF18 00000088
	v_add_u32_e32 v19, s31, v19                                // 000000004A38: 6826261F
	v_lshlrev_b32_e32 v19, 2, v19                              // 000000004A3C: 24262682
	v_and_b32_e32 v4, 31, v0                                   // 000000004A40: 2608009F
	v_lshrrev_b32_e32 v5, 1, v4                                // 000000004A44: 200A0881
	v_mul_u32_u24_e32 v28, 34, v5                              // 000000004A48: 10380AA2
	v_and_b32_e32 v5, 1, v4                                    // 000000004A4C: 260A0881
	v_add_u32_e32 v28, v5, v28                                 // 000000004A50: 68383905
	v_lshrrev_b32_e32 v4, 5, v0                                // 000000004A54: 20080085
	v_mul_u32_u24_e32 v4, 8, v4                                // 000000004A58: 10080888
	v_add_u32_e32 v28, v4, v28                                 // 000000004A5C: 68383904
	s_mul_i32 s31, s24, 2                                      // 000000004A60: 921F8218
	v_add_u32_e32 v28, s31, v28                                // 000000004A64: 6838381F
	v_lshlrev_b32_e32 v28, 2, v28                              // 000000004A68: 24383882
	s_lshr_b32 s31, s55, 2                                     // 000000004A6C: 8F1F8237
	s_and_b32 s32, s55, 3                                      // 000000004A70: 86208337
	s_cmp_lt_u32 s24, s32                                      // 000000004A74: BF0A2018
	s_cselect_b32 s32, 1, 0                                    // 000000004A78: 85208081
	s_add_u32 s55, s31, s32                                    // 000000004A7C: 8037201F
	s_mov_b32 s33, 0                                           // 000000004A80: BEA10080
	s_waitcnt vmcnt(0) expcnt(0) lgkmcnt(0)                    // 000000004A84: BF8C0000
	s_barrier                                                  // 000000004A88: BF8A0000
	v_cmp_u_f32_e64 s[60:61], v32, v32                         // 000000004A8C: D048003C 00024120
	v_add3_u32 v8, v32, v11, 1                                 // 000000004A94: D1FF0008 02061720
	v_cndmask_b32_e64 v4, v8, v10, s[60:61]                    // 000000004A9C: D1000004 00F21508
	v_cmp_u_f32_e64 s[60:61], v33, v33                         // 000000004AA4: D048003C 00024321
	v_add3_u32 v8, v33, v11, 1                                 // 000000004AAC: D1FF0008 02061721
	v_cndmask_b32_e64 v5, v8, v10, s[60:61]                    // 000000004AB4: D1000005 00F21508
	v_perm_b32 v40, v5, v4, s35                                // 000000004ABC: D1ED0028 008E0905
	v_cmp_u_f32_e64 s[60:61], v34, v34                         // 000000004AC4: D048003C 00024522
	v_add3_u32 v8, v34, v11, 1                                 // 000000004ACC: D1FF0008 02061722
	v_cndmask_b32_e64 v4, v8, v10, s[60:61]                    // 000000004AD4: D1000004 00F21508
	v_cmp_u_f32_e64 s[60:61], v35, v35                         // 000000004ADC: D048003C 00024723
	v_add3_u32 v8, v35, v11, 1                                 // 000000004AE4: D1FF0008 02061723
	v_cndmask_b32_e64 v5, v8, v10, s[60:61]                    // 000000004AEC: D1000005 00F21508
	v_perm_b32 v41, v5, v4, s35                                // 000000004AF4: D1ED0029 008E0905
	v_cmp_u_f32_e64 s[60:61], v36, v36                         // 000000004AFC: D048003C 00024924
	v_add3_u32 v8, v36, v11, 1                                 // 000000004B04: D1FF0008 02061724
	v_cndmask_b32_e64 v4, v8, v10, s[60:61]                    // 000000004B0C: D1000004 00F21508
	v_cmp_u_f32_e64 s[60:61], v37, v37                         // 000000004B14: D048003C 00024B25
	v_add3_u32 v8, v37, v11, 1                                 // 000000004B1C: D1FF0008 02061725
	v_cndmask_b32_e64 v5, v8, v10, s[60:61]                    // 000000004B24: D1000005 00F21508
	v_perm_b32 v42, v5, v4, s35                                // 000000004B2C: D1ED002A 008E0905
	v_cmp_u_f32_e64 s[60:61], v38, v38                         // 000000004B34: D048003C 00024D26
	v_add3_u32 v8, v38, v11, 1                                 // 000000004B3C: D1FF0008 02061726
	v_cndmask_b32_e64 v4, v8, v10, s[60:61]                    // 000000004B44: D1000004 00F21508
	v_cmp_u_f32_e64 s[60:61], v39, v39                         // 000000004B4C: D048003C 00024F27
	v_add3_u32 v8, v39, v11, 1                                 // 000000004B54: D1FF0008 02061727
	v_cndmask_b32_e64 v5, v8, v10, s[60:61]                    // 000000004B5C: D1000005 00F21508
	v_perm_b32 v43, v5, v4, s35                                // 000000004B64: D1ED002B 008E0905
	ds_write_b64 v19, v[40:41]                                 // 000000004B6C: D89A0000 00002813
	ds_write_b64 v19, v[42:43] offset:2176                     // 000000004B74: D89A0880 00002A13
	s_waitcnt lgkmcnt(0)                                       // 000000004B7C: BF8CC07F
	s_barrier                                                  // 000000004B80: BF8A0000
	ds_read_b32 v40, v28                                       // 000000004B84: D86C0000 2800001C
	ds_read_b32 v41, v28 offset:64                             // 000000004B8C: D86C0040 2900001C
	ds_read_b32 v42, v28 offset:2176                           // 000000004B94: D86C0880 2A00001C
	ds_read_b32 v43, v28 offset:2240                           // 000000004B9C: D86C08C0 2B00001C
	s_waitcnt lgkmcnt(0)                                       // 000000004BA4: BF8CC07F
	s_cmp_eq_u32 s24, 0                                        // 000000004BA8: BF068018
	s_cbranch_scc0 label_0872                                  // 000000004BAC: BF840006
	s_mov_b32 s31, 0                                           // 000000004BB0: BE9F0080

0000000000004bb4 <label_086D>:
	s_load_dword s32, s[40:41], s62 glc                        // 000000004BB4: C0010814 0000003E
	s_waitcnt lgkmcnt(0)                                       // 000000004BBC: BF8CC07F
	s_cmp_gt_u32 s32, s31                                      // 000000004BC0: BF081F20
	s_cbranch_scc0 label_086D                                  // 000000004BC4: BF84FFFB

0000000000004bc8 <label_0872>:
	s_barrier                                                  // 000000004BC8: BF8A0000
	s_mul_i32 s31, s30, 8                                      // 000000004BCC: 921F881E
	v_mov_b32_e32 v4, v14                                      // 000000004BD0: 7E08030E
	s_cmp_lt_i32 s33, s55                                      // 000000004BD4: BF043721
	s_cbranch_scc0 label_08C9                                  // 000000004BD8: BF840052
	s_mov_b32 s58, -1                                          // 000000004BDC: BEBA00C1
	s_mov_b32 s59, 0                                           // 000000004BE0: BEBB0080
	s_mov_b64 exec, s[58:59]                                   // 000000004BE4: BEFE013A
	global_atomic_pk_add_bf16 v4, v40, s[16:17]                // 000000004BE8: DD488000 00102804
	s_addk_i32 s33, 0x1                                        // 000000004BF0: B7210001
	s_cmp_lt_i32 s33, s55                                      // 000000004BF4: BF043721
	s_cbranch_scc0 label_08C9                                  // 000000004BF8: BF84004A
	s_mov_b32 s58, 0                                           // 000000004BFC: BEBA0080
	s_mov_b32 s59, -1                                          // 000000004C00: BEBB00C1
	s_mov_b64 exec, s[58:59]                                   // 000000004C04: BEFE013A
	global_atomic_pk_add_bf16 v4, v40, s[16:17]                // 000000004C08: DD488000 00102804
	s_addk_i32 s33, 0x1                                        // 000000004C10: B7210001
	s_mov_b32 s58, -1                                          // 000000004C14: BEBA00C1
	s_mov_b32 s59, -1                                          // 000000004C18: BEBB00C1
	s_mov_b64 exec, s[58:59]                                   // 000000004C1C: BEFE013A
	v_add_u32_e64 v4, v4, s31                                  // 000000004C20: D1340004 00003F04
	s_cmp_lt_i32 s33, s55                                      // 000000004C28: BF043721
	s_cbranch_scc0 label_08C9                                  // 000000004C2C: BF84003D
	s_mov_b32 s58, -1                                          // 000000004C30: BEBA00C1
	s_mov_b32 s59, 0                                           // 000000004C34: BEBB0080
	s_mov_b64 exec, s[58:59]                                   // 000000004C38: BEFE013A
	global_atomic_pk_add_bf16 v4, v41, s[16:17]                // 000000004C3C: DD488000 00102904
	s_addk_i32 s33, 0x1                                        // 000000004C44: B7210001
	s_cmp_lt_i32 s33, s55                                      // 000000004C48: BF043721
	s_cbranch_scc0 label_08C9                                  // 000000004C4C: BF840035
	s_mov_b32 s58, 0                                           // 000000004C50: BEBA0080
	s_mov_b32 s59, -1                                          // 000000004C54: BEBB00C1
	s_mov_b64 exec, s[58:59]                                   // 000000004C58: BEFE013A
	global_atomic_pk_add_bf16 v4, v41, s[16:17]                // 000000004C5C: DD488000 00102904
	s_addk_i32 s33, 0x1                                        // 000000004C64: B7210001
	s_mov_b32 s58, -1                                          // 000000004C68: BEBA00C1
	s_mov_b32 s59, -1                                          // 000000004C6C: BEBB00C1
	s_mov_b64 exec, s[58:59]                                   // 000000004C70: BEFE013A
	v_add_u32_e64 v4, v4, s31                                  // 000000004C74: D1340004 00003F04
	s_cmp_lt_i32 s33, s55                                      // 000000004C7C: BF043721
	s_cbranch_scc0 label_08C9                                  // 000000004C80: BF840028
	s_mov_b32 s58, -1                                          // 000000004C84: BEBA00C1
	s_mov_b32 s59, 0                                           // 000000004C88: BEBB0080
	s_mov_b64 exec, s[58:59]                                   // 000000004C8C: BEFE013A
	global_atomic_pk_add_bf16 v4, v42, s[16:17]                // 000000004C90: DD488000 00102A04
	s_addk_i32 s33, 0x1                                        // 000000004C98: B7210001
	s_cmp_lt_i32 s33, s55                                      // 000000004C9C: BF043721
	s_cbranch_scc0 label_08C9                                  // 000000004CA0: BF840020
	s_mov_b32 s58, 0                                           // 000000004CA4: BEBA0080
	s_mov_b32 s59, -1                                          // 000000004CA8: BEBB00C1
	s_mov_b64 exec, s[58:59]                                   // 000000004CAC: BEFE013A
	global_atomic_pk_add_bf16 v4, v42, s[16:17]                // 000000004CB0: DD488000 00102A04
	s_addk_i32 s33, 0x1                                        // 000000004CB8: B7210001
	s_mov_b32 s58, -1                                          // 000000004CBC: BEBA00C1
	s_mov_b32 s59, -1                                          // 000000004CC0: BEBB00C1
	s_mov_b64 exec, s[58:59]                                   // 000000004CC4: BEFE013A
	v_add_u32_e64 v4, v4, s31                                  // 000000004CC8: D1340004 00003F04
	s_cmp_lt_i32 s33, s55                                      // 000000004CD0: BF043721
	s_cbranch_scc0 label_08C9                                  // 000000004CD4: BF840013
	s_mov_b32 s58, -1                                          // 000000004CD8: BEBA00C1
	s_mov_b32 s59, 0                                           // 000000004CDC: BEBB0080
	s_mov_b64 exec, s[58:59]                                   // 000000004CE0: BEFE013A
	global_atomic_pk_add_bf16 v4, v43, s[16:17]                // 000000004CE4: DD488000 00102B04
	s_addk_i32 s33, 0x1                                        // 000000004CEC: B7210001
	s_cmp_lt_i32 s33, s55                                      // 000000004CF0: BF043721
	s_cbranch_scc0 label_08C9                                  // 000000004CF4: BF84000B
	s_mov_b32 s58, 0                                           // 000000004CF8: BEBA0080
	s_mov_b32 s59, -1                                          // 000000004CFC: BEBB00C1
	s_mov_b64 exec, s[58:59]                                   // 000000004D00: BEFE013A
	global_atomic_pk_add_bf16 v4, v43, s[16:17]                // 000000004D04: DD488000 00102B04
	s_addk_i32 s33, 0x1                                        // 000000004D0C: B7210001
	s_mov_b32 s58, -1                                          // 000000004D10: BEBA00C1
	s_mov_b32 s59, -1                                          // 000000004D14: BEBB00C1
	s_mov_b64 exec, s[58:59]                                   // 000000004D18: BEFE013A
	v_add_u32_e64 v4, v4, s31                                  // 000000004D1C: D1340004 00003F04

0000000000004d24 <label_08C9>:
	s_barrier                                                  // 000000004D24: BF8A0000
	s_cmp_eq_u32 s24, 0                                        // 000000004D28: BF068018
	s_cbranch_scc0 label_0912                                  // 000000004D2C: BF840046
	s_atomic_dec s52, s[40:41], s62                            // 000000004D30: C2300D14 0000003E
	s_branch label_0912                                        // 000000004D38: BF820043

0000000000004d3c <label_08CF>:
	s_cmp_lt_u32 s54, 1                                        // 000000004D3C: BF0A8136
	s_cbranch_scc0 label_08D6                                  // 000000004D40: BF840005
	buffer_store_dwordx4 v[32:35], v12, s[16:19], 0 offen      // 000000004D44: E07C1000 8004200C
	buffer_store_dwordx4 v[36:39], v13, s[16:19], 0 offen      // 000000004D4C: E07C1000 8004240D
	s_branch label_0912                                        // 000000004D54: BF82003C

0000000000004d58 <label_08D6>:
	v_cmp_u_f32_e64 s[60:61], v32, v32                         // 000000004D58: D048003C 00024120
	v_add3_u32 v8, v32, v11, 1                                 // 000000004D60: D1FF0008 02061720
	v_cndmask_b32_e64 v4, v8, v10, s[60:61]                    // 000000004D68: D1000004 00F21508
	v_cmp_u_f32_e64 s[60:61], v33, v33                         // 000000004D70: D048003C 00024321
	v_add3_u32 v8, v33, v11, 1                                 // 000000004D78: D1FF0008 02061721
	v_cndmask_b32_e64 v5, v8, v10, s[60:61]                    // 000000004D80: D1000005 00F21508
	v_perm_b32 v40, v5, v4, s35                                // 000000004D88: D1ED0028 008E0905
	v_cmp_u_f32_e64 s[60:61], v34, v34                         // 000000004D90: D048003C 00024522
	v_add3_u32 v8, v34, v11, 1                                 // 000000004D98: D1FF0008 02061722
	v_cndmask_b32_e64 v4, v8, v10, s[60:61]                    // 000000004DA0: D1000004 00F21508
	v_cmp_u_f32_e64 s[60:61], v35, v35                         // 000000004DA8: D048003C 00024723
	v_add3_u32 v8, v35, v11, 1                                 // 000000004DB0: D1FF0008 02061723
	v_cndmask_b32_e64 v5, v8, v10, s[60:61]                    // 000000004DB8: D1000005 00F21508
	v_perm_b32 v41, v5, v4, s35                                // 000000004DC0: D1ED0029 008E0905
	buffer_store_dwordx2 v[40:41], v12, s[16:19], 0 offen      // 000000004DC8: E0741000 8004280C
	v_cmp_u_f32_e64 s[60:61], v36, v36                         // 000000004DD0: D048003C 00024924
	v_add3_u32 v8, v36, v11, 1                                 // 000000004DD8: D1FF0008 02061724
	v_cndmask_b32_e64 v4, v8, v10, s[60:61]                    // 000000004DE0: D1000004 00F21508
	v_cmp_u_f32_e64 s[60:61], v37, v37                         // 000000004DE8: D048003C 00024B25
	v_add3_u32 v8, v37, v11, 1                                 // 000000004DF0: D1FF0008 02061725
	v_cndmask_b32_e64 v5, v8, v10, s[60:61]                    // 000000004DF8: D1000005 00F21508
	v_perm_b32 v42, v5, v4, s35                                // 000000004E00: D1ED002A 008E0905
	v_cmp_u_f32_e64 s[60:61], v38, v38                         // 000000004E08: D048003C 00024D26
	v_add3_u32 v8, v38, v11, 1                                 // 000000004E10: D1FF0008 02061726
	v_cndmask_b32_e64 v4, v8, v10, s[60:61]                    // 000000004E18: D1000004 00F21508
	v_cmp_u_f32_e64 s[60:61], v39, v39                         // 000000004E20: D048003C 00024F27
	v_add3_u32 v8, v39, v11, 1                                 // 000000004E28: D1FF0008 02061727
	v_cndmask_b32_e64 v5, v8, v10, s[60:61]                    // 000000004E30: D1000005 00F21508
	v_perm_b32 v43, v5, v4, s35                                // 000000004E38: D1ED002B 008E0905
	buffer_store_dwordx2 v[42:43], v13, s[16:19], 0 offen      // 000000004E40: E0741000 80042A0D

0000000000004e48 <label_0912>:
	s_waitcnt vmcnt(0) expcnt(0) lgkmcnt(0)                    // 000000004E48: BF8C0000
	s_endpgm                                                   // 000000004E4C: BF810000
